;; amdgpu-corpus repo=ROCm/rocFFT kind=compiled arch=gfx906 opt=O3
	.text
	.amdgcn_target "amdgcn-amd-amdhsa--gfx906"
	.amdhsa_code_object_version 6
	.protected	fft_rtc_back_len1512_factors_2_2_2_3_3_3_7_wgs_63_tpt_63_halfLds_sp_ip_CI_unitstride_sbrr_R2C_dirReg ; -- Begin function fft_rtc_back_len1512_factors_2_2_2_3_3_3_7_wgs_63_tpt_63_halfLds_sp_ip_CI_unitstride_sbrr_R2C_dirReg
	.globl	fft_rtc_back_len1512_factors_2_2_2_3_3_3_7_wgs_63_tpt_63_halfLds_sp_ip_CI_unitstride_sbrr_R2C_dirReg
	.p2align	8
	.type	fft_rtc_back_len1512_factors_2_2_2_3_3_3_7_wgs_63_tpt_63_halfLds_sp_ip_CI_unitstride_sbrr_R2C_dirReg,@function
fft_rtc_back_len1512_factors_2_2_2_3_3_3_7_wgs_63_tpt_63_halfLds_sp_ip_CI_unitstride_sbrr_R2C_dirReg: ; @fft_rtc_back_len1512_factors_2_2_2_3_3_3_7_wgs_63_tpt_63_halfLds_sp_ip_CI_unitstride_sbrr_R2C_dirReg
; %bb.0:
	s_load_dwordx2 s[12:13], s[4:5], 0x50
	s_load_dwordx4 s[8:11], s[4:5], 0x0
	s_load_dwordx2 s[2:3], s[4:5], 0x18
	v_mul_u32_u24_e32 v1, 0x411, v0
	v_add_u32_sdwa v5, s6, v1 dst_sel:DWORD dst_unused:UNUSED_PAD src0_sel:DWORD src1_sel:WORD_1
	v_mov_b32_e32 v3, 0
	s_waitcnt lgkmcnt(0)
	v_cmp_lt_u64_e64 s[0:1], s[10:11], 2
	v_mov_b32_e32 v1, 0
	v_mov_b32_e32 v6, v3
	s_and_b64 vcc, exec, s[0:1]
	v_mov_b32_e32 v2, 0
	s_cbranch_vccnz .LBB0_8
; %bb.1:
	s_load_dwordx2 s[0:1], s[4:5], 0x10
	s_add_u32 s6, s2, 8
	s_addc_u32 s7, s3, 0
	v_mov_b32_e32 v1, 0
	v_mov_b32_e32 v2, 0
	s_waitcnt lgkmcnt(0)
	s_add_u32 s14, s0, 8
	s_addc_u32 s15, s1, 0
	s_mov_b64 s[16:17], 1
.LBB0_2:                                ; =>This Inner Loop Header: Depth=1
	s_load_dwordx2 s[18:19], s[14:15], 0x0
                                        ; implicit-def: $vgpr7_vgpr8
	s_waitcnt lgkmcnt(0)
	v_or_b32_e32 v4, s19, v6
	v_cmp_ne_u64_e32 vcc, 0, v[3:4]
	s_and_saveexec_b64 s[0:1], vcc
	s_xor_b64 s[20:21], exec, s[0:1]
	s_cbranch_execz .LBB0_4
; %bb.3:                                ;   in Loop: Header=BB0_2 Depth=1
	v_cvt_f32_u32_e32 v4, s18
	v_cvt_f32_u32_e32 v7, s19
	s_sub_u32 s0, 0, s18
	s_subb_u32 s1, 0, s19
	v_mac_f32_e32 v4, 0x4f800000, v7
	v_rcp_f32_e32 v4, v4
	v_mul_f32_e32 v4, 0x5f7ffffc, v4
	v_mul_f32_e32 v7, 0x2f800000, v4
	v_trunc_f32_e32 v7, v7
	v_mac_f32_e32 v4, 0xcf800000, v7
	v_cvt_u32_f32_e32 v7, v7
	v_cvt_u32_f32_e32 v4, v4
	v_mul_lo_u32 v8, s0, v7
	v_mul_hi_u32 v9, s0, v4
	v_mul_lo_u32 v11, s1, v4
	v_mul_lo_u32 v10, s0, v4
	v_add_u32_e32 v8, v9, v8
	v_add_u32_e32 v8, v8, v11
	v_mul_hi_u32 v9, v4, v10
	v_mul_lo_u32 v11, v4, v8
	v_mul_hi_u32 v13, v4, v8
	v_mul_hi_u32 v12, v7, v10
	v_mul_lo_u32 v10, v7, v10
	v_mul_hi_u32 v14, v7, v8
	v_add_co_u32_e32 v9, vcc, v9, v11
	v_addc_co_u32_e32 v11, vcc, 0, v13, vcc
	v_mul_lo_u32 v8, v7, v8
	v_add_co_u32_e32 v9, vcc, v9, v10
	v_addc_co_u32_e32 v9, vcc, v11, v12, vcc
	v_addc_co_u32_e32 v10, vcc, 0, v14, vcc
	v_add_co_u32_e32 v8, vcc, v9, v8
	v_addc_co_u32_e32 v9, vcc, 0, v10, vcc
	v_add_co_u32_e32 v4, vcc, v4, v8
	v_addc_co_u32_e32 v7, vcc, v7, v9, vcc
	v_mul_lo_u32 v8, s0, v7
	v_mul_hi_u32 v9, s0, v4
	v_mul_lo_u32 v10, s1, v4
	v_mul_lo_u32 v11, s0, v4
	v_add_u32_e32 v8, v9, v8
	v_add_u32_e32 v8, v8, v10
	v_mul_lo_u32 v12, v4, v8
	v_mul_hi_u32 v13, v4, v11
	v_mul_hi_u32 v14, v4, v8
	;; [unrolled: 1-line block ×3, first 2 shown]
	v_mul_lo_u32 v11, v7, v11
	v_mul_hi_u32 v9, v7, v8
	v_add_co_u32_e32 v12, vcc, v13, v12
	v_addc_co_u32_e32 v13, vcc, 0, v14, vcc
	v_mul_lo_u32 v8, v7, v8
	v_add_co_u32_e32 v11, vcc, v12, v11
	v_addc_co_u32_e32 v10, vcc, v13, v10, vcc
	v_addc_co_u32_e32 v9, vcc, 0, v9, vcc
	v_add_co_u32_e32 v8, vcc, v10, v8
	v_addc_co_u32_e32 v9, vcc, 0, v9, vcc
	v_add_co_u32_e32 v4, vcc, v4, v8
	v_addc_co_u32_e32 v9, vcc, v7, v9, vcc
	v_mad_u64_u32 v[7:8], s[0:1], v5, v9, 0
	v_mul_hi_u32 v10, v5, v4
	v_add_co_u32_e32 v11, vcc, v10, v7
	v_addc_co_u32_e32 v12, vcc, 0, v8, vcc
	v_mad_u64_u32 v[7:8], s[0:1], v6, v4, 0
	v_mad_u64_u32 v[9:10], s[0:1], v6, v9, 0
	v_add_co_u32_e32 v4, vcc, v11, v7
	v_addc_co_u32_e32 v4, vcc, v12, v8, vcc
	v_addc_co_u32_e32 v7, vcc, 0, v10, vcc
	v_add_co_u32_e32 v4, vcc, v4, v9
	v_addc_co_u32_e32 v9, vcc, 0, v7, vcc
	v_mul_lo_u32 v10, s19, v4
	v_mul_lo_u32 v11, s18, v9
	v_mad_u64_u32 v[7:8], s[0:1], s18, v4, 0
	v_add3_u32 v8, v8, v11, v10
	v_sub_u32_e32 v10, v6, v8
	v_mov_b32_e32 v11, s19
	v_sub_co_u32_e32 v7, vcc, v5, v7
	v_subb_co_u32_e64 v10, s[0:1], v10, v11, vcc
	v_subrev_co_u32_e64 v11, s[0:1], s18, v7
	v_subbrev_co_u32_e64 v10, s[0:1], 0, v10, s[0:1]
	v_cmp_le_u32_e64 s[0:1], s19, v10
	v_cndmask_b32_e64 v12, 0, -1, s[0:1]
	v_cmp_le_u32_e64 s[0:1], s18, v11
	v_cndmask_b32_e64 v11, 0, -1, s[0:1]
	v_cmp_eq_u32_e64 s[0:1], s19, v10
	v_cndmask_b32_e64 v10, v12, v11, s[0:1]
	v_add_co_u32_e64 v11, s[0:1], 2, v4
	v_addc_co_u32_e64 v12, s[0:1], 0, v9, s[0:1]
	v_add_co_u32_e64 v13, s[0:1], 1, v4
	v_addc_co_u32_e64 v14, s[0:1], 0, v9, s[0:1]
	v_subb_co_u32_e32 v8, vcc, v6, v8, vcc
	v_cmp_ne_u32_e64 s[0:1], 0, v10
	v_cmp_le_u32_e32 vcc, s19, v8
	v_cndmask_b32_e64 v10, v14, v12, s[0:1]
	v_cndmask_b32_e64 v12, 0, -1, vcc
	v_cmp_le_u32_e32 vcc, s18, v7
	v_cndmask_b32_e64 v7, 0, -1, vcc
	v_cmp_eq_u32_e32 vcc, s19, v8
	v_cndmask_b32_e32 v7, v12, v7, vcc
	v_cmp_ne_u32_e32 vcc, 0, v7
	v_cndmask_b32_e64 v7, v13, v11, s[0:1]
	v_cndmask_b32_e32 v8, v9, v10, vcc
	v_cndmask_b32_e32 v7, v4, v7, vcc
.LBB0_4:                                ;   in Loop: Header=BB0_2 Depth=1
	s_andn2_saveexec_b64 s[0:1], s[20:21]
	s_cbranch_execz .LBB0_6
; %bb.5:                                ;   in Loop: Header=BB0_2 Depth=1
	v_cvt_f32_u32_e32 v4, s18
	s_sub_i32 s20, 0, s18
	v_rcp_iflag_f32_e32 v4, v4
	v_mul_f32_e32 v4, 0x4f7ffffe, v4
	v_cvt_u32_f32_e32 v4, v4
	v_mul_lo_u32 v7, s20, v4
	v_mul_hi_u32 v7, v4, v7
	v_add_u32_e32 v4, v4, v7
	v_mul_hi_u32 v4, v5, v4
	v_mul_lo_u32 v7, v4, s18
	v_add_u32_e32 v8, 1, v4
	v_sub_u32_e32 v7, v5, v7
	v_subrev_u32_e32 v9, s18, v7
	v_cmp_le_u32_e32 vcc, s18, v7
	v_cndmask_b32_e32 v7, v7, v9, vcc
	v_cndmask_b32_e32 v4, v4, v8, vcc
	v_add_u32_e32 v8, 1, v4
	v_cmp_le_u32_e32 vcc, s18, v7
	v_cndmask_b32_e32 v7, v4, v8, vcc
	v_mov_b32_e32 v8, v3
.LBB0_6:                                ;   in Loop: Header=BB0_2 Depth=1
	s_or_b64 exec, exec, s[0:1]
	v_mul_lo_u32 v4, v8, s18
	v_mul_lo_u32 v11, v7, s19
	v_mad_u64_u32 v[9:10], s[0:1], v7, s18, 0
	s_load_dwordx2 s[0:1], s[6:7], 0x0
	s_add_u32 s16, s16, 1
	v_add3_u32 v4, v10, v11, v4
	v_sub_co_u32_e32 v5, vcc, v5, v9
	v_subb_co_u32_e32 v4, vcc, v6, v4, vcc
	s_waitcnt lgkmcnt(0)
	v_mul_lo_u32 v4, s0, v4
	v_mul_lo_u32 v6, s1, v5
	v_mad_u64_u32 v[1:2], s[0:1], s0, v5, v[1:2]
	s_addc_u32 s17, s17, 0
	s_add_u32 s6, s6, 8
	v_add3_u32 v2, v6, v2, v4
	v_mov_b32_e32 v4, s10
	v_mov_b32_e32 v5, s11
	s_addc_u32 s7, s7, 0
	v_cmp_ge_u64_e32 vcc, s[16:17], v[4:5]
	s_add_u32 s14, s14, 8
	s_addc_u32 s15, s15, 0
	s_cbranch_vccnz .LBB0_9
; %bb.7:                                ;   in Loop: Header=BB0_2 Depth=1
	v_mov_b32_e32 v5, v7
	v_mov_b32_e32 v6, v8
	s_branch .LBB0_2
.LBB0_8:
	v_mov_b32_e32 v8, v6
	v_mov_b32_e32 v7, v5
.LBB0_9:
	s_lshl_b64 s[0:1], s[10:11], 3
	s_add_u32 s0, s2, s0
	s_addc_u32 s1, s3, s1
	s_load_dwordx2 s[2:3], s[0:1], 0x0
	s_load_dwordx2 s[6:7], s[4:5], 0x20
                                        ; implicit-def: $vgpr65
                                        ; implicit-def: $vgpr64
                                        ; implicit-def: $vgpr59
                                        ; implicit-def: $vgpr61
                                        ; implicit-def: $vgpr63
                                        ; implicit-def: $vgpr58
                                        ; implicit-def: $vgpr57
                                        ; implicit-def: $vgpr56
                                        ; implicit-def: $vgpr55
                                        ; implicit-def: $vgpr54
	s_waitcnt lgkmcnt(0)
	v_mad_u64_u32 v[1:2], s[0:1], s2, v7, v[1:2]
	s_mov_b32 s0, 0x4104105
	v_mul_lo_u32 v3, s2, v8
	v_mul_lo_u32 v4, s3, v7
	v_mul_hi_u32 v5, v0, s0
	v_cmp_gt_u64_e32 vcc, s[6:7], v[7:8]
	v_cmp_le_u64_e64 s[0:1], s[6:7], v[7:8]
	v_add3_u32 v2, v4, v2, v3
	v_mul_u32_u24_e32 v3, 63, v5
	v_sub_u32_e32 v48, v0, v3
	v_add_u32_e32 v50, 63, v48
	s_and_saveexec_b64 s[2:3], s[0:1]
	s_xor_b64 s[0:1], exec, s[2:3]
; %bb.10:
	v_add_u32_e32 v50, 63, v48
	v_add_u32_e32 v65, 0x7e, v48
	;; [unrolled: 1-line block ×11, first 2 shown]
; %bb.11:
	s_or_saveexec_b64 s[2:3], s[0:1]
	v_lshlrev_b64 v[52:53], 3, v[1:2]
	s_xor_b64 exec, exec, s[2:3]
	s_cbranch_execz .LBB0_13
; %bb.12:
	v_mov_b32_e32 v49, 0
	v_mov_b32_e32 v0, s13
	v_add_co_u32_e64 v2, s[0:1], s12, v52
	v_addc_co_u32_e64 v3, s[0:1], v0, v53, s[0:1]
	v_lshlrev_b64 v[0:1], 3, v[48:49]
	v_add_u32_e32 v65, 0x7e, v48
	v_add_co_u32_e64 v0, s[0:1], v2, v0
	v_addc_co_u32_e64 v1, s[0:1], v3, v1, s[0:1]
	s_movk_i32 s0, 0x1000
	v_add_co_u32_e64 v18, s[0:1], s0, v0
	v_addc_co_u32_e64 v19, s[0:1], 0, v1, s[0:1]
	s_movk_i32 s0, 0x2000
	global_load_dwordx2 v[2:3], v[0:1], off
	global_load_dwordx2 v[4:5], v[0:1], off offset:504
	global_load_dwordx2 v[6:7], v[0:1], off offset:1008
	;; [unrolled: 1-line block ×11, first 2 shown]
	v_add_co_u32_e64 v0, s[0:1], s0, v0
	global_load_dwordx2 v[28:29], v[18:19], off offset:1952
	global_load_dwordx2 v[30:31], v[18:19], off offset:2456
	;; [unrolled: 1-line block ×4, first 2 shown]
	v_addc_co_u32_e64 v1, s[0:1], 0, v1, s[0:1]
	global_load_dwordx2 v[36:37], v[18:19], off offset:3968
	global_load_dwordx2 v[38:39], v[0:1], off offset:376
	;; [unrolled: 1-line block ×8, first 2 shown]
	v_lshl_add_u32 v0, v48, 3, 0
	v_add_u32_e32 v54, 0x1800, v0
	v_add_u32_e32 v64, 0xbd, v48
	;; [unrolled: 1-line block ×18, first 2 shown]
	s_waitcnt vmcnt(22)
	ds_write2_b64 v0, v[2:3], v[4:5] offset1:63
	s_waitcnt vmcnt(20)
	ds_write2_b64 v0, v[6:7], v[8:9] offset0:126 offset1:189
	s_waitcnt vmcnt(18)
	ds_write2_b64 v1, v[10:11], v[12:13] offset0:124 offset1:187
	;; [unrolled: 2-line block ×11, first 2 shown]
	v_add_u32_e32 v54, 0x2b5, v48
.LBB0_13:
	s_or_b64 exec, exec, s[2:3]
	v_lshlrev_b32_e32 v49, 3, v48
	v_add_u32_e32 v76, 0, v49
	s_waitcnt lgkmcnt(0)
	; wave barrier
	s_waitcnt lgkmcnt(0)
	v_add_u32_e32 v4, 0x1400, v76
	ds_read2_b64 v[10:13], v76 offset1:63
	ds_read2_b64 v[14:17], v4 offset0:116 offset1:179
	v_add_u32_e32 v2, 0x400, v76
	v_add_u32_e32 v8, 0x1800, v76
	;; [unrolled: 1-line block ×4, first 2 shown]
	s_waitcnt lgkmcnt(0)
	v_sub_f32_e32 v0, v10, v14
	v_sub_f32_e32 v1, v11, v15
	v_fma_f32 v14, v10, 2.0, -v0
	v_fma_f32 v15, v11, 2.0, -v1
	v_add_u32_e32 v6, 0x2000, v76
	v_add_u32_e32 v5, 0xc00, v76
	v_add_u32_e32 v3, 0x2400, v76
	v_add_u32_e32 v11, 0x1000, v76
	v_add_u32_e32 v10, 0x2800, v76
	ds_read2_b64 v[18:21], v2 offset0:124 offset1:187
	ds_read2_b64 v[22:25], v76 offset0:126 offset1:189
	;; [unrolled: 1-line block ×10, first 2 shown]
	v_add_u32_e32 v2, v76, v49
	s_waitcnt lgkmcnt(0)
	; wave barrier
	s_waitcnt lgkmcnt(0)
	ds_write2_b64 v2, v[14:15], v[0:1] offset1:1
	v_sub_f32_e32 v0, v12, v16
	v_sub_f32_e32 v1, v13, v17
	v_fma_f32 v12, v12, 2.0, -v0
	v_fma_f32 v13, v13, 2.0, -v1
	v_lshl_add_u32 v2, v50, 4, 0
	ds_write2_b64 v2, v[12:13], v[0:1] offset1:1
	v_sub_f32_e32 v0, v22, v26
	v_sub_f32_e32 v1, v23, v27
	v_fma_f32 v12, v22, 2.0, -v0
	v_fma_f32 v13, v23, 2.0, -v1
	v_lshl_add_u32 v2, v65, 4, 0
	ds_write2_b64 v2, v[12:13], v[0:1] offset1:1
	v_sub_f32_e32 v0, v24, v28
	v_sub_f32_e32 v1, v25, v29
	v_fma_f32 v12, v24, 2.0, -v0
	v_fma_f32 v13, v25, 2.0, -v1
	v_lshl_add_u32 v2, v64, 4, 0
	ds_write2_b64 v2, v[12:13], v[0:1] offset1:1
	v_sub_f32_e32 v0, v18, v30
	v_sub_f32_e32 v1, v19, v31
	v_fma_f32 v12, v18, 2.0, -v0
	v_fma_f32 v13, v19, 2.0, -v1
	v_lshl_add_u32 v2, v59, 4, 0
	ds_write2_b64 v2, v[12:13], v[0:1] offset1:1
	v_sub_f32_e32 v0, v20, v32
	v_sub_f32_e32 v1, v21, v33
	v_fma_f32 v12, v20, 2.0, -v0
	v_fma_f32 v13, v21, 2.0, -v1
	v_lshl_add_u32 v2, v61, 4, 0
	ds_write2_b64 v2, v[12:13], v[0:1] offset1:1
	v_sub_f32_e32 v0, v34, v38
	v_sub_f32_e32 v1, v35, v39
	v_sub_f32_e32 v12, v36, v40
	v_sub_f32_e32 v13, v37, v41
	v_fma_f32 v14, v34, 2.0, -v0
	v_fma_f32 v15, v35, 2.0, -v1
	v_sub_f32_e32 v18, v42, v66
	v_sub_f32_e32 v19, v43, v67
	;; [unrolled: 1-line block ×8, first 2 shown]
	v_lshl_add_u32 v82, v63, 4, 0
	v_and_b32_e32 v38, 1, v50
	v_fma_f32 v16, v36, 2.0, -v12
	v_fma_f32 v17, v37, 2.0, -v13
	;; [unrolled: 1-line block ×10, first 2 shown]
	ds_write2_b64 v82, v[14:15], v[0:1] offset1:1
	v_lshl_add_u32 v81, v58, 4, 0
	v_lshl_add_u32 v80, v57, 4, 0
	;; [unrolled: 1-line block ×5, first 2 shown]
	v_lshlrev_b32_e32 v0, 3, v38
	ds_write2_b64 v81, v[16:17], v[12:13] offset1:1
	ds_write2_b64 v80, v[22:23], v[18:19] offset1:1
	;; [unrolled: 1-line block ×5, first 2 shown]
	s_waitcnt lgkmcnt(0)
	; wave barrier
	s_waitcnt lgkmcnt(0)
	global_load_dwordx2 v[0:1], v0, s[8:9]
	v_and_b32_e32 v40, 1, v64
	v_and_b32_e32 v39, 1, v48
	v_lshlrev_b32_e32 v12, 3, v40
	v_and_b32_e32 v41, 1, v61
	v_lshlrev_b32_e32 v2, 3, v39
	v_lshlrev_b32_e32 v13, 3, v41
	global_load_dwordx2 v[18:19], v12, s[8:9]
	global_load_dwordx2 v[20:21], v13, s[8:9]
	;; [unrolled: 1-line block ×3, first 2 shown]
	v_and_b32_e32 v42, 1, v58
	v_lshlrev_b32_e32 v2, 3, v42
	global_load_dwordx2 v[24:25], v2, s[8:9]
	v_and_b32_e32 v43, 1, v56
	v_lshlrev_b32_e32 v2, 3, v43
	global_load_dwordx2 v[26:27], v2, s[8:9]
	;; [unrolled: 3-line block ×3, first 2 shown]
	ds_read2_b64 v[12:15], v4 offset0:116 offset1:179
	v_lshl_add_u32 v87, v50, 3, 0
	v_lshl_add_u32 v86, v65, 3, 0
	;; [unrolled: 1-line block ×3, first 2 shown]
	s_movk_i32 s0, 0x7c
	v_lshlrev_b32_e32 v66, 1, v48
	v_and_or_b32 v104, v66, s0, v39
	v_lshl_add_u32 v85, v59, 3, 0
	v_lshlrev_b32_e32 v51, 3, v63
	v_lshlrev_b32_e32 v62, 3, v58
	;; [unrolled: 1-line block ×6, first 2 shown]
	v_lshl_add_u32 v104, v104, 3, 0
	v_lshl_add_u32 v83, v61, 3, 0
	v_sub_u32_e32 v101, v79, v89
	v_sub_u32_e32 v102, v78, v90
	;; [unrolled: 1-line block ×3, first 2 shown]
	s_movk_i32 s0, 0xfc
	s_movk_i32 s1, 0x2fc
	s_mov_b32 s2, 0xe38f
	s_waitcnt vmcnt(6) lgkmcnt(0)
	v_mul_f32_e32 v45, v1, v15
	v_mul_f32_e32 v1, v1, v14
	v_fmac_f32_e32 v45, v0, v14
	v_fma_f32 v46, v0, v15, -v1
	ds_read2_b64 v[14:17], v8 offset0:114 offset1:177
	s_waitcnt vmcnt(3)
	v_mul_f32_e32 v0, v23, v12
	v_fma_f32 v30, v22, v13, -v0
	s_waitcnt lgkmcnt(0)
	v_mul_f32_e32 v47, v17, v19
	v_mul_f32_e32 v0, v16, v19
	v_fmac_f32_e32 v47, v16, v18
	v_fma_f32 v67, v17, v18, -v0
	ds_read2_b64 v[16:19], v9 offset0:112 offset1:175
	v_mul_f32_e32 v2, v23, v13
	v_mul_f32_e32 v68, v23, v15
	;; [unrolled: 1-line block ×3, first 2 shown]
	v_fmac_f32_e32 v2, v22, v12
	v_fmac_f32_e32 v68, v22, v14
	v_fma_f32 v69, v22, v15, -v0
	ds_read2_b64 v[12:15], v6 offset0:110 offset1:173
	s_waitcnt lgkmcnt(1)
	v_mul_f32_e32 v0, v18, v21
	v_fma_f32 v71, v19, v20, -v0
	v_mul_f32_e32 v0, v16, v23
	v_mul_f32_e32 v72, v17, v23
	v_fma_f32 v73, v17, v22, -v0
	s_waitcnt vmcnt(2) lgkmcnt(0)
	v_mul_f32_e32 v74, v15, v25
	v_mul_f32_e32 v0, v14, v25
	v_fmac_f32_e32 v72, v16, v22
	v_fmac_f32_e32 v74, v14, v24
	v_fma_f32 v75, v15, v24, -v0
	ds_read2_b64 v[14:17], v3 offset0:108 offset1:171
	v_mul_f32_e32 v0, v12, v23
	v_mul_f32_e32 v70, v19, v21
	v_fma_f32 v92, v13, v22, -v0
	v_fmac_f32_e32 v70, v18, v20
	s_waitcnt vmcnt(1) lgkmcnt(0)
	v_mul_f32_e32 v93, v17, v27
	v_mul_f32_e32 v0, v16, v27
	v_fmac_f32_e32 v93, v16, v26
	v_fma_f32 v94, v17, v26, -v0
	ds_read2_b64 v[16:19], v10 offset0:106 offset1:169
	v_mul_f32_e32 v0, v14, v23
	v_fma_f32 v96, v15, v22, -v0
	v_mul_f32_e32 v91, v13, v23
	v_mul_f32_e32 v95, v15, v23
	s_waitcnt lgkmcnt(0)
	v_mul_f32_e32 v0, v16, v23
	v_fma_f32 v98, v17, v22, -v0
	s_waitcnt vmcnt(0)
	v_mul_f32_e32 v0, v18, v29
	v_fma_f32 v100, v19, v28, -v0
	ds_read_b64 v[0:1], v76
	v_mul_f32_e32 v97, v17, v23
	v_fmac_f32_e32 v91, v12, v22
	v_fmac_f32_e32 v95, v14, v22
	v_fmac_f32_e32 v97, v16, v22
	v_mul_f32_e32 v99, v19, v29
	ds_read_b64 v[12:13], v87
	ds_read_b64 v[14:15], v86
	;; [unrolled: 1-line block ×3, first 2 shown]
	v_fmac_f32_e32 v99, v18, v28
	s_waitcnt lgkmcnt(3)
	v_sub_f32_e32 v18, v0, v2
	v_sub_f32_e32 v19, v1, v30
	v_fma_f32 v20, v0, 2.0, -v18
	v_fma_f32 v21, v1, 2.0, -v19
	v_sub_u32_e32 v0, v82, v51
	v_sub_u32_e32 v1, v81, v62
	;; [unrolled: 1-line block ×3, first 2 shown]
	ds_read_b64 v[22:23], v85
	ds_read_b64 v[24:25], v83
	;; [unrolled: 1-line block ×8, first 2 shown]
	s_waitcnt lgkmcnt(0)
	; wave barrier
	s_waitcnt lgkmcnt(0)
	ds_write2_b64 v104, v[20:21], v[18:19] offset1:2
	v_sub_f32_e32 v18, v12, v45
	v_lshlrev_b32_e32 v45, 1, v50
	v_sub_f32_e32 v19, v13, v46
	v_and_or_b32 v20, v45, s0, v38
	v_fma_f32 v12, v12, 2.0, -v18
	v_fma_f32 v13, v13, 2.0, -v19
	v_lshl_add_u32 v20, v20, 3, 0
	s_movk_i32 s0, 0x1fc
	v_lshlrev_b32_e32 v38, 1, v65
	ds_write2_b64 v20, v[12:13], v[18:19] offset1:2
	v_sub_f32_e32 v12, v14, v68
	v_sub_f32_e32 v13, v15, v69
	v_and_or_b32 v18, v38, s0, v39
	v_fma_f32 v14, v14, 2.0, -v12
	v_fma_f32 v15, v15, 2.0, -v13
	v_lshl_add_u32 v18, v18, 3, 0
	ds_write2_b64 v18, v[14:15], v[12:13] offset1:2
	v_sub_f32_e32 v12, v16, v47
	v_lshlrev_b32_e32 v46, 1, v64
	v_sub_f32_e32 v13, v17, v67
	v_fma_f32 v14, v16, 2.0, -v12
	v_and_or_b32 v16, v46, s0, v40
	v_fma_f32 v15, v17, 2.0, -v13
	v_lshl_add_u32 v16, v16, 3, 0
	s_movk_i32 s0, 0x3fc
	v_lshlrev_b32_e32 v40, 1, v59
	ds_write2_b64 v16, v[14:15], v[12:13] offset1:2
	v_sub_f32_e32 v12, v22, v72
	v_sub_f32_e32 v13, v23, v73
	v_and_or_b32 v16, v40, s0, v39
	v_fma_f32 v14, v22, 2.0, -v12
	v_fma_f32 v15, v23, 2.0, -v13
	v_lshl_add_u32 v16, v16, 3, 0
	v_lshlrev_b32_e32 v47, 1, v61
	ds_write2_b64 v16, v[14:15], v[12:13] offset1:2
	v_sub_f32_e32 v12, v24, v70
	v_sub_f32_e32 v13, v25, v71
	v_and_or_b32 v16, v47, s1, v41
	v_fma_f32 v14, v24, 2.0, -v12
	v_fma_f32 v15, v25, 2.0, -v13
	v_lshl_add_u32 v16, v16, 3, 0
	;; [unrolled: 8-line block ×4, first 2 shown]
	s_movk_i32 s0, 0x7fc
	v_lshlrev_b32_e32 v42, 1, v57
	ds_write2_b64 v16, v[14:15], v[12:13] offset1:2
	v_sub_f32_e32 v12, v30, v95
	v_sub_f32_e32 v13, v31, v96
	v_and_or_b32 v16, v42, s0, v39
	v_fma_f32 v14, v30, 2.0, -v12
	v_fma_f32 v15, v31, 2.0, -v13
	v_lshl_add_u32 v16, v16, 3, 0
	s_movk_i32 s0, 0x4fc
	v_lshlrev_b32_e32 v68, 1, v56
	ds_write2_b64 v16, v[14:15], v[12:13] offset1:2
	v_sub_f32_e32 v12, v32, v93
	v_sub_f32_e32 v13, v33, v94
	v_and_or_b32 v16, v68, s0, v43
	v_fma_f32 v14, v32, 2.0, -v12
	v_fma_f32 v15, v33, 2.0, -v13
	v_lshl_add_u32 v16, v16, 3, 0
	;; [unrolled: 9-line block ×3, first 2 shown]
	v_lshlrev_b32_e32 v39, 1, v54
	ds_write2_b64 v16, v[14:15], v[12:13] offset1:2
	v_sub_f32_e32 v12, v36, v99
	v_sub_f32_e32 v13, v37, v100
	v_and_or_b32 v16, v39, s0, v44
	v_fma_f32 v14, v36, 2.0, -v12
	v_fma_f32 v15, v37, 2.0, -v13
	v_lshl_add_u32 v16, v16, 3, 0
	v_and_b32_e32 v44, 3, v65
	ds_write2_b64 v16, v[14:15], v[12:13] offset1:2
	v_lshlrev_b32_e32 v12, 3, v44
	s_waitcnt lgkmcnt(0)
	; wave barrier
	s_waitcnt lgkmcnt(0)
	global_load_dwordx2 v[16:17], v12, s[8:9] offset:16
	v_and_b32_e32 v69, 3, v64
	v_lshlrev_b32_e32 v12, 3, v69
	v_and_b32_e32 v70, 3, v63
	global_load_dwordx2 v[20:21], v12, s[8:9] offset:16
	v_lshlrev_b32_e32 v12, 3, v70
	global_load_dwordx2 v[22:23], v12, s[8:9] offset:16
	v_and_b32_e32 v71, 3, v58
	v_lshlrev_b32_e32 v12, 3, v71
	v_and_b32_e32 v72, 3, v50
	global_load_dwordx2 v[24:25], v12, s[8:9] offset:16
	v_lshlrev_b32_e32 v12, 3, v72
	global_load_dwordx2 v[26:27], v12, s[8:9] offset:16
	v_and_b32_e32 v73, 3, v48
	v_lshlrev_b32_e32 v12, 3, v73
	global_load_dwordx2 v[28:29], v12, s[8:9] offset:16
	v_and_b32_e32 v75, 3, v56
	v_and_b32_e32 v74, 3, v61
	v_lshlrev_b32_e32 v13, 3, v75
	v_lshlrev_b32_e32 v12, 3, v74
	global_load_dwordx2 v[30:31], v13, s[8:9] offset:16
	global_load_dwordx2 v[32:33], v12, s[8:9] offset:16
	v_and_b32_e32 v91, 3, v55
	v_lshlrev_b32_e32 v12, 3, v91
	global_load_dwordx2 v[34:35], v12, s[8:9] offset:16
	v_and_b32_e32 v92, 3, v54
	v_lshlrev_b32_e32 v12, 3, v92
	global_load_dwordx2 v[36:37], v12, s[8:9] offset:16
	ds_read2_b64 v[12:15], v8 offset0:114 offset1:177
	s_movk_i32 s0, 0x78
	s_movk_i32 s1, 0x2f8
	s_waitcnt vmcnt(9) lgkmcnt(0)
	v_mul_f32_e32 v93, v17, v13
	v_fmac_f32_e32 v93, v16, v12
	v_mul_f32_e32 v12, v17, v12
	v_fma_f32 v94, v16, v13, -v12
	ds_read2_b64 v[16:19], v6 offset0:110 offset1:173
	s_waitcnt vmcnt(8)
	v_mul_f32_e32 v12, v14, v21
	v_mul_f32_e32 v95, v15, v21
	v_fma_f32 v96, v15, v20, -v12
	v_fmac_f32_e32 v95, v14, v20
	s_waitcnt vmcnt(7) lgkmcnt(0)
	v_mul_f32_e32 v12, v16, v23
	v_fma_f32 v98, v17, v22, -v12
	ds_read2_b64 v[12:15], v4 offset0:116 offset1:179
	v_mul_f32_e32 v97, v17, v23
	v_fmac_f32_e32 v97, v16, v22
	s_waitcnt vmcnt(6)
	v_mul_f32_e32 v16, v18, v25
	v_fma_f32 v100, v19, v24, -v16
	s_waitcnt vmcnt(5) lgkmcnt(0)
	v_mul_f32_e32 v104, v27, v15
	v_fmac_f32_e32 v104, v26, v14
	v_mul_f32_e32 v14, v27, v14
	v_fma_f32 v105, v26, v15, -v14
	ds_read2_b64 v[14:17], v9 offset0:112 offset1:175
	s_waitcnt vmcnt(4)
	v_mul_f32_e32 v20, v29, v13
	v_fmac_f32_e32 v20, v28, v12
	v_mul_f32_e32 v12, v29, v12
	v_mul_f32_e32 v99, v19, v25
	v_fma_f32 v21, v28, v13, -v12
	s_waitcnt vmcnt(2) lgkmcnt(0)
	v_mul_f32_e32 v106, v17, v33
	v_mul_f32_e32 v12, v16, v33
	v_fmac_f32_e32 v99, v18, v24
	v_fmac_f32_e32 v106, v16, v32
	v_fma_f32 v107, v17, v32, -v12
	ds_read2_b64 v[16:19], v3 offset0:108 offset1:171
	v_mul_f32_e32 v12, v14, v29
	v_mul_f32_e32 v3, v15, v29
	v_fma_f32 v108, v15, v28, -v12
	v_fmac_f32_e32 v3, v14, v28
	s_waitcnt lgkmcnt(0)
	v_mul_f32_e32 v12, v16, v29
	v_fma_f32 v110, v17, v28, -v12
	ds_read2_b64 v[12:15], v10 offset0:106 offset1:169
	v_mul_f32_e32 v109, v17, v29
	v_fmac_f32_e32 v109, v16, v28
	v_mul_f32_e32 v111, v19, v31
	v_mul_f32_e32 v16, v18, v31
	s_waitcnt vmcnt(1) lgkmcnt(0)
	v_mul_f32_e32 v113, v13, v35
	v_fmac_f32_e32 v113, v12, v34
	v_mul_f32_e32 v12, v12, v35
	v_fma_f32 v114, v13, v34, -v12
	ds_read_b64 v[12:13], v76
	s_waitcnt vmcnt(0)
	v_mul_f32_e32 v115, v15, v37
	v_fmac_f32_e32 v115, v14, v36
	v_mul_f32_e32 v14, v14, v37
	v_fmac_f32_e32 v111, v18, v30
	v_fma_f32 v112, v19, v30, -v16
	v_fma_f32 v116, v15, v36, -v14
	ds_read_b64 v[14:15], v87
	ds_read_b64 v[16:17], v86
	;; [unrolled: 1-line block ×3, first 2 shown]
	s_waitcnt lgkmcnt(3)
	v_sub_f32_e32 v20, v12, v20
	v_sub_f32_e32 v21, v13, v21
	ds_read_b64 v[22:23], v102
	ds_read_b64 v[24:25], v103
	;; [unrolled: 1-line block ×8, first 2 shown]
	v_and_or_b32 v101, v66, s0, v73
	v_fma_f32 v12, v12, 2.0, -v20
	v_fma_f32 v13, v13, 2.0, -v21
	v_lshl_add_u32 v101, v101, 3, 0
	s_movk_i32 s0, 0xf8
	s_waitcnt lgkmcnt(0)
	; wave barrier
	s_waitcnt lgkmcnt(0)
	ds_write2_b64 v101, v[12:13], v[20:21] offset1:4
	v_sub_f32_e32 v12, v14, v104
	v_sub_f32_e32 v13, v15, v105
	v_and_or_b32 v20, v45, s0, v72
	v_fma_f32 v14, v14, 2.0, -v12
	v_fma_f32 v15, v15, 2.0, -v13
	v_lshl_add_u32 v20, v20, 3, 0
	ds_write2_b64 v20, v[14:15], v[12:13] offset1:4
	v_sub_f32_e32 v12, v16, v93
	s_movk_i32 s0, 0x1f8
	v_sub_f32_e32 v13, v17, v94
	v_fma_f32 v14, v16, 2.0, -v12
	v_and_or_b32 v16, v38, s0, v44
	v_fma_f32 v15, v17, 2.0, -v13
	v_lshl_add_u32 v16, v16, 3, 0
	ds_write2_b64 v16, v[14:15], v[12:13] offset1:4
	v_sub_f32_e32 v12, v18, v95
	v_sub_f32_e32 v13, v19, v96
	v_and_or_b32 v16, v46, s0, v69
	v_fma_f32 v14, v18, 2.0, -v12
	v_fma_f32 v15, v19, 2.0, -v13
	v_lshl_add_u32 v16, v16, 3, 0
	s_movk_i32 s0, 0x3f8
	ds_write2_b64 v16, v[14:15], v[12:13] offset1:4
	v_sub_f32_e32 v12, v30, v3
	v_sub_f32_e32 v13, v31, v108
	v_and_or_b32 v3, v40, s0, v73
	v_fma_f32 v14, v30, 2.0, -v12
	v_fma_f32 v15, v31, 2.0, -v13
	v_lshl_add_u32 v3, v3, 3, 0
	ds_write2_b64 v3, v[14:15], v[12:13] offset1:4
	v_sub_f32_e32 v12, v32, v106
	v_sub_f32_e32 v13, v33, v107
	v_and_or_b32 v3, v47, s1, v74
	v_fma_f32 v14, v32, 2.0, -v12
	v_fma_f32 v15, v33, 2.0, -v13
	v_lshl_add_u32 v3, v3, 3, 0
	ds_write2_b64 v3, v[14:15], v[12:13] offset1:4
	v_sub_f32_e32 v12, v34, v97
	v_sub_f32_e32 v13, v35, v98
	v_and_or_b32 v3, v41, s0, v70
	v_fma_f32 v14, v34, 2.0, -v12
	v_fma_f32 v15, v35, 2.0, -v13
	v_lshl_add_u32 v3, v3, 3, 0
	ds_write2_b64 v3, v[14:15], v[12:13] offset1:4
	v_sub_f32_e32 v12, v36, v99
	v_sub_f32_e32 v13, v37, v100
	v_and_or_b32 v3, v67, s0, v71
	v_fma_f32 v14, v36, 2.0, -v12
	v_fma_f32 v15, v37, 2.0, -v13
	v_lshl_add_u32 v3, v3, 3, 0
	s_movk_i32 s0, 0x7f8
	ds_write2_b64 v3, v[14:15], v[12:13] offset1:4
	v_sub_f32_e32 v12, v28, v109
	v_sub_f32_e32 v13, v29, v110
	v_and_or_b32 v3, v42, s0, v73
	v_fma_f32 v14, v28, 2.0, -v12
	v_fma_f32 v15, v29, 2.0, -v13
	v_lshl_add_u32 v3, v3, 3, 0
	s_movk_i32 s0, 0x4f8
	ds_write2_b64 v3, v[14:15], v[12:13] offset1:4
	v_sub_f32_e32 v12, v26, v111
	v_sub_f32_e32 v13, v27, v112
	v_and_or_b32 v3, v68, s0, v75
	v_fma_f32 v14, v26, 2.0, -v12
	v_fma_f32 v15, v27, 2.0, -v13
	v_lshl_add_u32 v3, v3, 3, 0
	;; [unrolled: 8-line block ×3, first 2 shown]
	ds_write2_b64 v3, v[14:15], v[12:13] offset1:4
	v_sub_f32_e32 v12, v24, v115
	v_sub_f32_e32 v13, v25, v116
	v_and_or_b32 v3, v39, s0, v92
	v_fma_f32 v14, v24, 2.0, -v12
	v_fma_f32 v15, v25, 2.0, -v13
	v_lshl_add_u32 v3, v3, 3, 0
	ds_write2_b64 v3, v[14:15], v[12:13] offset1:4
	v_and_b32_e32 v3, 7, v50
	v_lshlrev_b32_e32 v12, 4, v3
	s_waitcnt lgkmcnt(0)
	; wave barrier
	s_waitcnt lgkmcnt(0)
	global_load_dwordx4 v[12:15], v12, s[8:9] offset:48
	v_and_b32_e32 v71, 7, v65
	v_lshlrev_b32_e32 v16, 4, v71
	global_load_dwordx4 v[16:19], v16, s[8:9] offset:48
	v_and_b32_e32 v72, 7, v64
	v_lshlrev_b32_e32 v20, 4, v72
	;; [unrolled: 3-line block ×7, first 2 shown]
	global_load_dwordx4 v[40:43], v40, s[8:9] offset:48
	ds_read2_b64 v[44:47], v11 offset0:55 offset1:118
	ds_read2_b64 v[67:70], v6 offset0:47 offset1:110
	s_movk_i32 s0, 0xab
	s_mov_b32 s1, 0xaaab
	s_waitcnt vmcnt(7) lgkmcnt(1)
	v_mul_f32_e32 v93, v13, v45
	v_mul_f32_e32 v13, v13, v44
	v_fmac_f32_e32 v93, v12, v44
	v_fma_f32 v44, v12, v45, -v13
	s_waitcnt lgkmcnt(0)
	v_mul_f32_e32 v45, v68, v15
	v_mul_f32_e32 v12, v67, v15
	v_fmac_f32_e32 v45, v67, v14
	v_fma_f32 v67, v68, v14, -v12
	s_waitcnt vmcnt(6)
	v_mul_f32_e32 v68, v47, v17
	v_mul_f32_e32 v12, v46, v17
	v_fmac_f32_e32 v68, v46, v16
	v_fma_f32 v46, v47, v16, -v12
	ds_read2_b64 v[12:15], v11 offset0:181 offset1:244
	v_mul_f32_e32 v47, v70, v19
	v_mul_f32_e32 v16, v69, v19
	v_fmac_f32_e32 v47, v69, v18
	v_fma_f32 v69, v70, v18, -v16
	ds_read2_b64 v[16:19], v6 offset0:173 offset1:236
	s_waitcnt vmcnt(5) lgkmcnt(1)
	v_mul_f32_e32 v70, v13, v21
	v_fmac_f32_e32 v70, v12, v20
	v_mul_f32_e32 v12, v12, v21
	v_fma_f32 v94, v13, v20, -v12
	s_waitcnt lgkmcnt(0)
	v_mul_f32_e32 v12, v16, v23
	v_fma_f32 v96, v17, v22, -v12
	s_waitcnt vmcnt(4)
	v_mul_f32_e32 v97, v15, v25
	v_mul_f32_e32 v12, v14, v25
	;; [unrolled: 1-line block ×3, first 2 shown]
	v_fmac_f32_e32 v97, v14, v24
	v_fma_f32 v98, v15, v24, -v12
	ds_read2_b64 v[12:15], v8 offset0:51 offset1:114
	v_fmac_f32_e32 v95, v16, v22
	v_mul_f32_e32 v99, v19, v27
	v_mul_f32_e32 v16, v18, v27
	v_fmac_f32_e32 v99, v18, v26
	v_fma_f32 v100, v19, v26, -v16
	ds_read2_b64 v[16:19], v10 offset0:43 offset1:106
	s_waitcnt vmcnt(3) lgkmcnt(1)
	v_mul_f32_e32 v101, v13, v29
	v_fmac_f32_e32 v101, v12, v28
	v_mul_f32_e32 v12, v12, v29
	v_fma_f32 v102, v13, v28, -v12
	s_waitcnt lgkmcnt(0)
	v_mul_f32_e32 v12, v16, v31
	v_fma_f32 v104, v17, v30, -v12
	s_waitcnt vmcnt(2)
	v_mul_f32_e32 v105, v15, v33
	v_mul_f32_e32 v12, v14, v33
	;; [unrolled: 1-line block ×3, first 2 shown]
	v_fmac_f32_e32 v105, v14, v32
	v_fma_f32 v32, v15, v32, -v12
	v_mul_f32_e32 v33, v19, v35
	v_mul_f32_e32 v12, v18, v35
	v_fmac_f32_e32 v103, v16, v30
	v_fmac_f32_e32 v33, v18, v34
	ds_read_b64 v[16:17], v2
	v_fma_f32 v34, v19, v34, -v12
	ds_read2_b64 v[12:15], v8 offset0:177 offset1:240
	ds_read_b64 v[18:19], v1
	s_waitcnt vmcnt(1) lgkmcnt(2)
	v_mul_f32_e32 v22, v37, v17
	s_waitcnt lgkmcnt(1)
	v_mul_f32_e32 v24, v39, v15
	v_fmac_f32_e32 v24, v38, v14
	v_mul_f32_e32 v14, v39, v14
	v_fma_f32 v25, v38, v15, -v14
	s_waitcnt vmcnt(0)
	v_mul_f32_e32 v35, v13, v41
	ds_read_b64 v[14:15], v76 offset:11592
	v_fmac_f32_e32 v22, v36, v16
	v_mul_f32_e32 v16, v37, v16
	v_fmac_f32_e32 v35, v12, v40
	v_mul_f32_e32 v12, v12, v41
	v_fma_f32 v23, v36, v17, -v16
	v_fma_f32 v36, v13, v40, -v12
	ds_read_b64 v[12:13], v86
	ds_read_b64 v[16:17], v87
	;; [unrolled: 1-line block ×3, first 2 shown]
	s_waitcnt lgkmcnt(3)
	v_mul_f32_e32 v37, v15, v43
	v_fmac_f32_e32 v37, v14, v42
	v_mul_f32_e32 v14, v14, v43
	v_fma_f32 v38, v15, v42, -v14
	s_waitcnt lgkmcnt(0)
	v_add_f32_e32 v14, v20, v22
	v_add_f32_e32 v15, v22, v24
	v_sub_f32_e32 v40, v22, v24
	v_lshrrev_b32_e32 v22, 3, v48
	v_fma_f32 v20, -0.5, v15, v20
	v_add_f32_e32 v15, v21, v23
	v_sub_f32_e32 v39, v23, v25
	v_add_f32_e32 v23, v23, v25
	v_mul_u32_u24_e32 v22, 24, v22
	v_fmac_f32_e32 v21, -0.5, v23
	v_or_b32_e32 v41, v22, v91
	v_mov_b32_e32 v22, v20
	v_mov_b32_e32 v23, v21
	v_lshl_add_u32 v41, v41, 3, 0
	v_fmac_f32_e32 v20, 0x3f5db3d7, v39
	v_fmac_f32_e32 v21, 0xbf5db3d7, v40
	v_add_f32_e32 v14, v14, v24
	v_add_f32_e32 v15, v15, v25
	ds_read_b64 v[24:25], v84
	ds_read_b64 v[26:27], v85
	;; [unrolled: 1-line block ×4, first 2 shown]
	s_waitcnt lgkmcnt(0)
	; wave barrier
	s_waitcnt lgkmcnt(0)
	ds_write_b64 v41, v[20:21] offset:128
	v_lshrrev_b32_e32 v20, 3, v50
	v_mul_lo_u32 v20, v20, 24
	v_fmac_f32_e32 v22, 0xbf5db3d7, v39
	v_fmac_f32_e32 v23, 0x3f5db3d7, v40
	ds_write2_b64 v41, v[14:15], v[22:23] offset1:8
	v_add_f32_e32 v15, v93, v45
	v_add_f32_e32 v21, v44, v67
	;; [unrolled: 1-line block ×3, first 2 shown]
	v_fma_f32 v16, -0.5, v15, v16
	v_add_f32_e32 v15, v17, v44
	v_sub_f32_e32 v22, v44, v67
	v_fmac_f32_e32 v17, -0.5, v21
	v_sub_f32_e32 v23, v93, v45
	v_or_b32_e32 v3, v20, v3
	v_mov_b32_e32 v20, v16
	v_mov_b32_e32 v21, v17
	v_lshl_add_u32 v3, v3, 3, 0
	v_fmac_f32_e32 v16, 0x3f5db3d7, v22
	v_fmac_f32_e32 v17, 0xbf5db3d7, v23
	ds_write_b64 v3, v[16:17] offset:128
	v_lshrrev_b32_e32 v16, 3, v65
	v_mul_lo_u32 v16, v16, 24
	v_add_f32_e32 v14, v14, v45
	v_add_f32_e32 v15, v15, v67
	v_fmac_f32_e32 v20, 0xbf5db3d7, v22
	v_fmac_f32_e32 v21, 0x3f5db3d7, v23
	ds_write2_b64 v3, v[14:15], v[20:21] offset1:8
	v_add_f32_e32 v3, v12, v68
	v_add_f32_e32 v14, v68, v47
	v_add_f32_e32 v17, v46, v69
	v_fma_f32 v12, -0.5, v14, v12
	v_add_f32_e32 v14, v3, v47
	v_add_f32_e32 v3, v13, v46
	v_fmac_f32_e32 v13, -0.5, v17
	v_add_f32_e32 v15, v3, v69
	v_sub_f32_e32 v3, v46, v69
	v_sub_f32_e32 v20, v68, v47
	v_or_b32_e32 v21, v16, v71
	v_mov_b32_e32 v16, v12
	v_mov_b32_e32 v17, v13
	v_fmac_f32_e32 v16, 0xbf5db3d7, v3
	v_fmac_f32_e32 v17, 0x3f5db3d7, v20
	v_lshl_add_u32 v21, v21, 3, 0
	ds_write2_b64 v21, v[14:15], v[16:17] offset1:8
	v_lshrrev_b32_e32 v14, 3, v64
	v_mul_lo_u32 v14, v14, 24
	v_fmac_f32_e32 v12, 0x3f5db3d7, v3
	v_fmac_f32_e32 v13, 0xbf5db3d7, v20
	ds_write_b64 v21, v[12:13] offset:128
	v_add_f32_e32 v3, v24, v70
	v_add_f32_e32 v12, v70, v95
	;; [unrolled: 1-line block ×3, first 2 shown]
	v_fma_f32 v24, -0.5, v12, v24
	v_add_f32_e32 v12, v3, v95
	v_add_f32_e32 v3, v25, v94
	v_fmac_f32_e32 v25, -0.5, v15
	v_add_f32_e32 v13, v3, v96
	v_sub_f32_e32 v3, v94, v96
	v_sub_f32_e32 v16, v70, v95
	v_or_b32_e32 v17, v14, v72
	v_mov_b32_e32 v14, v24
	v_mov_b32_e32 v15, v25
	v_fmac_f32_e32 v14, 0xbf5db3d7, v3
	v_fmac_f32_e32 v15, 0x3f5db3d7, v16
	v_lshl_add_u32 v17, v17, 3, 0
	ds_write2_b64 v17, v[12:13], v[14:15] offset1:8
	v_lshrrev_b32_e32 v14, 3, v59
	v_mul_lo_u32 v14, v14, 24
	v_fmac_f32_e32 v24, 0x3f5db3d7, v3
	v_add_f32_e32 v3, v26, v97
	v_add_f32_e32 v12, v97, v99
	v_add_f32_e32 v15, v98, v100
	v_fmac_f32_e32 v25, 0xbf5db3d7, v16
	v_fma_f32 v26, -0.5, v12, v26
	v_add_f32_e32 v12, v3, v99
	v_add_f32_e32 v3, v27, v98
	v_fmac_f32_e32 v27, -0.5, v15
	ds_write_b64 v17, v[24:25] offset:128
	v_add_f32_e32 v13, v3, v100
	v_sub_f32_e32 v3, v98, v100
	v_sub_f32_e32 v16, v97, v99
	v_or_b32_e32 v17, v14, v73
	v_mov_b32_e32 v14, v26
	v_mov_b32_e32 v15, v27
	v_fmac_f32_e32 v14, 0xbf5db3d7, v3
	v_fmac_f32_e32 v15, 0x3f5db3d7, v16
	v_lshl_add_u32 v17, v17, 3, 0
	ds_write2_b64 v17, v[12:13], v[14:15] offset1:8
	v_lshrrev_b32_e32 v14, 3, v61
	v_mul_lo_u32 v14, v14, 24
	v_fmac_f32_e32 v26, 0x3f5db3d7, v3
	v_add_f32_e32 v3, v28, v101
	v_add_f32_e32 v12, v101, v103
	v_add_f32_e32 v15, v102, v104
	v_fmac_f32_e32 v27, 0xbf5db3d7, v16
	v_fma_f32 v28, -0.5, v12, v28
	v_add_f32_e32 v12, v3, v103
	v_add_f32_e32 v3, v29, v102
	v_fmac_f32_e32 v29, -0.5, v15
	ds_write_b64 v17, v[26:27] offset:128
	;; [unrolled: 22-line block ×3, first 2 shown]
	v_add_f32_e32 v13, v3, v34
	v_sub_f32_e32 v3, v32, v34
	v_sub_f32_e32 v16, v105, v33
	v_or_b32_e32 v17, v14, v75
	v_mov_b32_e32 v14, v30
	v_mov_b32_e32 v15, v31
	v_fmac_f32_e32 v14, 0xbf5db3d7, v3
	v_fmac_f32_e32 v15, 0x3f5db3d7, v16
	v_lshl_add_u32 v17, v17, 3, 0
	ds_write2_b64 v17, v[12:13], v[14:15] offset1:8
	v_lshrrev_b32_e32 v14, 3, v58
	v_mul_lo_u32 v14, v14, 24
	v_fmac_f32_e32 v30, 0x3f5db3d7, v3
	v_add_f32_e32 v3, v18, v35
	v_add_f32_e32 v12, v35, v37
	v_fmac_f32_e32 v31, 0xbf5db3d7, v16
	v_fma_f32 v18, -0.5, v12, v18
	v_add_f32_e32 v12, v3, v37
	v_add_f32_e32 v3, v19, v36
	ds_write_b64 v17, v[30:31] offset:128
	v_add_f32_e32 v13, v3, v38
	v_sub_f32_e32 v3, v36, v38
	v_add_f32_e32 v15, v36, v38
	v_or_b32_e32 v17, v14, v92
	v_mov_b32_e32 v14, v18
	v_fmac_f32_e32 v19, -0.5, v15
	v_fmac_f32_e32 v14, 0xbf5db3d7, v3
	v_fmac_f32_e32 v18, 0x3f5db3d7, v3
	v_mul_lo_u16_sdwa v3, v50, s0 dst_sel:DWORD dst_unused:UNUSED_PAD src0_sel:BYTE_0 src1_sel:DWORD
	v_sub_f32_e32 v16, v35, v37
	v_mov_b32_e32 v15, v19
	v_lshrrev_b16_e32 v71, 12, v3
	v_fmac_f32_e32 v15, 0x3f5db3d7, v16
	v_fmac_f32_e32 v19, 0xbf5db3d7, v16
	v_mul_lo_u16_e32 v3, 24, v71
	v_mul_lo_u16_sdwa v16, v65, s0 dst_sel:DWORD dst_unused:UNUSED_PAD src0_sel:BYTE_0 src1_sel:DWORD
	v_lshl_add_u32 v17, v17, 3, 0
	v_sub_u16_e32 v72, v50, v3
	v_mov_b32_e32 v3, 4
	v_lshrrev_b16_e32 v73, 12, v16
	ds_write2_b64 v17, v[12:13], v[14:15] offset1:8
	v_lshlrev_b32_sdwa v12, v3, v72 dst_sel:DWORD dst_unused:UNUSED_PAD src0_sel:DWORD src1_sel:BYTE_0
	v_mul_lo_u16_e32 v16, 24, v73
	ds_write_b64 v17, v[18:19] offset:128
	s_waitcnt lgkmcnt(0)
	; wave barrier
	s_waitcnt lgkmcnt(0)
	global_load_dwordx4 v[12:15], v12, s[8:9] offset:176
	v_sub_u16_e32 v74, v65, v16
	v_lshlrev_b32_sdwa v16, v3, v74 dst_sel:DWORD dst_unused:UNUSED_PAD src0_sel:DWORD src1_sel:BYTE_0
	global_load_dwordx4 v[16:19], v16, s[8:9] offset:176
	v_mul_lo_u16_sdwa v20, v64, s0 dst_sel:DWORD dst_unused:UNUSED_PAD src0_sel:BYTE_0 src1_sel:DWORD
	v_lshrrev_b16_e32 v75, 12, v20
	v_mul_lo_u16_e32 v20, 24, v75
	v_sub_u16_e32 v91, v64, v20
	v_mul_u32_u24_sdwa v24, v59, s1 dst_sel:DWORD dst_unused:UNUSED_PAD src0_sel:WORD_0 src1_sel:DWORD
	v_lshlrev_b32_sdwa v20, v3, v91 dst_sel:DWORD dst_unused:UNUSED_PAD src0_sel:DWORD src1_sel:BYTE_0
	v_lshrrev_b32_e32 v92, 20, v24
	global_load_dwordx4 v[20:23], v20, s[8:9] offset:176
	v_mul_lo_u16_e32 v24, 24, v92
	v_sub_u16_e32 v93, v59, v24
	v_lshlrev_b32_e32 v24, 4, v93
	global_load_dwordx4 v[24:27], v24, s[8:9] offset:176
	v_mul_u32_u24_sdwa v28, v61, s1 dst_sel:DWORD dst_unused:UNUSED_PAD src0_sel:WORD_0 src1_sel:DWORD
	v_lshrrev_b32_e32 v94, 20, v28
	v_mul_lo_u16_e32 v28, 24, v94
	v_sub_u16_e32 v95, v61, v28
	v_mul_u32_u24_sdwa v32, v63, s1 dst_sel:DWORD dst_unused:UNUSED_PAD src0_sel:WORD_0 src1_sel:DWORD
	v_lshlrev_b32_e32 v28, 4, v95
	v_lshrrev_b32_e32 v96, 20, v32
	global_load_dwordx4 v[28:31], v28, s[8:9] offset:176
	v_mul_lo_u16_e32 v32, 24, v96
	v_sub_u16_e32 v97, v63, v32
	v_lshlrev_b32_e32 v32, 4, v97
	global_load_dwordx4 v[32:35], v32, s[8:9] offset:176
	v_mul_lo_u16_sdwa v36, v48, s0 dst_sel:DWORD dst_unused:UNUSED_PAD src0_sel:BYTE_0 src1_sel:DWORD
	v_lshrrev_b16_e32 v98, 12, v36
	v_mul_lo_u16_e32 v36, 24, v98
	v_sub_u16_e32 v99, v48, v36
	v_lshlrev_b32_sdwa v36, v3, v99 dst_sel:DWORD dst_unused:UNUSED_PAD src0_sel:DWORD src1_sel:BYTE_0
	global_load_dwordx4 v[36:39], v36, s[8:9] offset:176
	v_mul_u32_u24_sdwa v40, v58, s1 dst_sel:DWORD dst_unused:UNUSED_PAD src0_sel:WORD_0 src1_sel:DWORD
	v_lshrrev_b32_e32 v100, 20, v40
	v_mul_lo_u16_e32 v40, 24, v100
	v_sub_u16_e32 v101, v58, v40
	v_lshlrev_b32_e32 v40, 4, v101
	global_load_dwordx4 v[40:43], v40, s[8:9] offset:176
	ds_read2_b64 v[44:47], v11 offset0:55 offset1:118
	ds_read2_b64 v[67:70], v6 offset0:47 offset1:110
	v_cmp_gt_u32_e64 s[0:1], 9, v48
	s_waitcnt vmcnt(7) lgkmcnt(1)
	v_mul_f32_e32 v102, v13, v45
	v_mul_f32_e32 v13, v13, v44
	v_fmac_f32_e32 v102, v12, v44
	v_fma_f32 v44, v12, v45, -v13
	s_waitcnt lgkmcnt(0)
	v_mul_f32_e32 v45, v68, v15
	v_mul_f32_e32 v12, v67, v15
	v_fmac_f32_e32 v45, v67, v14
	v_fma_f32 v67, v68, v14, -v12
	s_waitcnt vmcnt(6)
	v_mul_f32_e32 v68, v47, v17
	v_mul_f32_e32 v12, v46, v17
	v_fmac_f32_e32 v68, v46, v16
	v_fma_f32 v46, v47, v16, -v12
	ds_read2_b64 v[12:15], v11 offset0:181 offset1:244
	v_mul_f32_e32 v47, v70, v19
	v_mul_f32_e32 v16, v69, v19
	v_fmac_f32_e32 v47, v69, v18
	v_fma_f32 v69, v70, v18, -v16
	ds_read2_b64 v[16:19], v6 offset0:173 offset1:236
	s_waitcnt vmcnt(5) lgkmcnt(1)
	v_mul_f32_e32 v70, v13, v21
	v_fmac_f32_e32 v70, v12, v20
	v_mul_f32_e32 v12, v12, v21
	v_fma_f32 v103, v13, v20, -v12
	s_waitcnt lgkmcnt(0)
	v_mul_f32_e32 v12, v16, v23
	v_fma_f32 v105, v17, v22, -v12
	s_waitcnt vmcnt(4)
	v_mul_f32_e32 v106, v15, v25
	v_mul_f32_e32 v12, v14, v25
	;; [unrolled: 1-line block ×3, first 2 shown]
	v_fmac_f32_e32 v106, v14, v24
	v_fma_f32 v107, v15, v24, -v12
	ds_read2_b64 v[12:15], v8 offset0:51 offset1:114
	v_fmac_f32_e32 v104, v16, v22
	v_mul_f32_e32 v108, v19, v27
	v_mul_f32_e32 v16, v18, v27
	v_fmac_f32_e32 v108, v18, v26
	v_fma_f32 v109, v19, v26, -v16
	ds_read2_b64 v[16:19], v10 offset0:43 offset1:106
	s_waitcnt vmcnt(3) lgkmcnt(1)
	v_mul_f32_e32 v110, v13, v29
	v_fmac_f32_e32 v110, v12, v28
	v_mul_f32_e32 v12, v12, v29
	v_fma_f32 v111, v13, v28, -v12
	s_waitcnt lgkmcnt(0)
	v_mul_f32_e32 v12, v16, v31
	v_fma_f32 v113, v17, v30, -v12
	s_waitcnt vmcnt(2)
	v_mul_f32_e32 v12, v14, v33
	v_mul_f32_e32 v112, v17, v31
	;; [unrolled: 1-line block ×3, first 2 shown]
	v_fma_f32 v115, v15, v32, -v12
	v_mul_f32_e32 v116, v19, v35
	v_mul_f32_e32 v12, v18, v35
	v_fmac_f32_e32 v112, v16, v30
	v_fmac_f32_e32 v114, v14, v32
	;; [unrolled: 1-line block ×3, first 2 shown]
	ds_read_b64 v[16:17], v2
	v_fma_f32 v34, v19, v34, -v12
	ds_read2_b64 v[12:15], v8 offset0:177 offset1:240
	ds_read_b64 v[18:19], v1
	s_waitcnt vmcnt(1) lgkmcnt(2)
	v_mul_f32_e32 v24, v37, v17
	s_waitcnt lgkmcnt(1)
	v_mul_f32_e32 v26, v39, v15
	v_fmac_f32_e32 v26, v38, v14
	v_mul_f32_e32 v14, v39, v14
	v_fmac_f32_e32 v24, v36, v16
	v_mul_f32_e32 v16, v37, v16
	v_fma_f32 v27, v38, v15, -v14
	ds_read_b64 v[14:15], v76 offset:11592
	v_fma_f32 v25, v36, v17, -v16
	ds_read_b64 v[16:17], v86
	ds_read_b64 v[20:21], v87
	;; [unrolled: 1-line block ×3, first 2 shown]
	s_waitcnt vmcnt(0)
	v_mul_f32_e32 v35, v13, v41
	v_fmac_f32_e32 v35, v12, v40
	v_mul_f32_e32 v12, v12, v41
	v_fma_f32 v36, v13, v40, -v12
	s_waitcnt lgkmcnt(3)
	v_mul_f32_e32 v12, v14, v43
	v_fma_f32 v38, v15, v42, -v12
	s_waitcnt lgkmcnt(0)
	v_add_f32_e32 v12, v22, v24
	v_add_f32_e32 v13, v24, v26
	v_mul_f32_e32 v37, v15, v43
	v_fma_f32 v22, -0.5, v13, v22
	v_add_f32_e32 v13, v12, v26
	v_add_f32_e32 v12, v23, v25
	v_fmac_f32_e32 v37, v14, v42
	v_add_f32_e32 v14, v12, v27
	v_add_f32_e32 v12, v25, v27
	v_fmac_f32_e32 v23, -0.5, v12
	v_mov_b32_e32 v12, 3
	v_sub_f32_e32 v15, v25, v27
	v_sub_f32_e32 v39, v24, v26
	v_mul_u32_u24_e32 v24, 0x240, v98
	v_lshlrev_b32_sdwa v25, v12, v99 dst_sel:DWORD dst_unused:UNUSED_PAD src0_sel:DWORD src1_sel:BYTE_0
	v_add3_u32 v40, 0, v24, v25
	v_mov_b32_e32 v24, v22
	v_mov_b32_e32 v25, v23
	v_fmac_f32_e32 v24, 0xbf5db3d7, v15
	v_fmac_f32_e32 v25, 0x3f5db3d7, v39
	;; [unrolled: 1-line block ×4, first 2 shown]
	ds_read_b64 v[26:27], v84
	ds_read_b64 v[28:29], v85
	;; [unrolled: 1-line block ×4, first 2 shown]
	s_waitcnt lgkmcnt(0)
	; wave barrier
	s_waitcnt lgkmcnt(0)
	ds_write2_b64 v40, v[13:14], v[24:25] offset1:24
	ds_write_b64 v40, v[22:23] offset:384
	v_add_f32_e32 v14, v102, v45
	v_add_f32_e32 v22, v44, v67
	;; [unrolled: 1-line block ×3, first 2 shown]
	v_fma_f32 v20, -0.5, v14, v20
	v_add_f32_e32 v14, v21, v44
	v_fmac_f32_e32 v21, -0.5, v22
	v_mul_u32_u24_e32 v22, 0x240, v71
	v_lshlrev_b32_sdwa v23, v12, v72 dst_sel:DWORD dst_unused:UNUSED_PAD src0_sel:DWORD src1_sel:BYTE_0
	v_sub_f32_e32 v15, v44, v67
	v_sub_f32_e32 v24, v102, v45
	v_add3_u32 v25, 0, v22, v23
	v_mov_b32_e32 v22, v20
	v_mov_b32_e32 v23, v21
	v_add_f32_e32 v13, v13, v45
	v_add_f32_e32 v14, v14, v67
	v_fmac_f32_e32 v22, 0xbf5db3d7, v15
	v_fmac_f32_e32 v23, 0x3f5db3d7, v24
	;; [unrolled: 1-line block ×4, first 2 shown]
	ds_write2_b64 v25, v[13:14], v[22:23] offset1:24
	ds_write_b64 v25, v[20:21] offset:384
	v_add_f32_e32 v14, v68, v47
	v_add_f32_e32 v20, v46, v69
	;; [unrolled: 1-line block ×3, first 2 shown]
	v_fma_f32 v16, -0.5, v14, v16
	v_add_f32_e32 v14, v17, v46
	v_fmac_f32_e32 v17, -0.5, v20
	v_mul_u32_u24_e32 v20, 0x240, v73
	v_lshlrev_b32_sdwa v21, v12, v74 dst_sel:DWORD dst_unused:UNUSED_PAD src0_sel:DWORD src1_sel:BYTE_0
	v_sub_f32_e32 v15, v46, v69
	v_sub_f32_e32 v22, v68, v47
	v_add3_u32 v23, 0, v20, v21
	v_mov_b32_e32 v20, v16
	v_mov_b32_e32 v21, v17
	v_add_f32_e32 v13, v13, v47
	v_add_f32_e32 v14, v14, v69
	v_fmac_f32_e32 v20, 0xbf5db3d7, v15
	v_fmac_f32_e32 v21, 0x3f5db3d7, v22
	ds_write2_b64 v23, v[13:14], v[20:21] offset1:24
	v_fmac_f32_e32 v16, 0x3f5db3d7, v15
	v_fmac_f32_e32 v17, 0xbf5db3d7, v22
	v_add_f32_e32 v14, v70, v104
	v_add_f32_e32 v15, v103, v105
	ds_write_b64 v23, v[16:17] offset:384
	v_add_f32_e32 v13, v26, v70
	v_fma_f32 v26, -0.5, v14, v26
	v_add_f32_e32 v14, v27, v103
	v_fmac_f32_e32 v27, -0.5, v15
	v_mul_u32_u24_e32 v15, 0x240, v75
	v_lshlrev_b32_sdwa v16, v12, v91 dst_sel:DWORD dst_unused:UNUSED_PAD src0_sel:DWORD src1_sel:BYTE_0
	v_sub_f32_e32 v17, v103, v105
	v_sub_f32_e32 v20, v70, v104
	v_add3_u32 v21, 0, v15, v16
	v_mov_b32_e32 v15, v26
	v_mov_b32_e32 v16, v27
	v_add_f32_e32 v13, v13, v104
	v_add_f32_e32 v14, v14, v105
	v_fmac_f32_e32 v15, 0xbf5db3d7, v17
	v_fmac_f32_e32 v16, 0x3f5db3d7, v20
	ds_write2_b64 v21, v[13:14], v[15:16] offset1:24
	v_add_f32_e32 v14, v106, v108
	v_add_f32_e32 v15, v107, v109
	v_fmac_f32_e32 v26, 0x3f5db3d7, v17
	v_fmac_f32_e32 v27, 0xbf5db3d7, v20
	v_add_f32_e32 v13, v28, v106
	v_fma_f32 v28, -0.5, v14, v28
	v_add_f32_e32 v14, v29, v107
	v_fmac_f32_e32 v29, -0.5, v15
	v_mul_u32_u24_e32 v15, 0x240, v92
	v_lshlrev_b32_e32 v16, 3, v93
	ds_write_b64 v21, v[26:27] offset:384
	v_sub_f32_e32 v17, v107, v109
	v_sub_f32_e32 v20, v106, v108
	v_add3_u32 v21, 0, v15, v16
	v_mov_b32_e32 v15, v28
	v_mov_b32_e32 v16, v29
	v_add_f32_e32 v13, v13, v108
	v_add_f32_e32 v14, v14, v109
	v_fmac_f32_e32 v15, 0xbf5db3d7, v17
	v_fmac_f32_e32 v16, 0x3f5db3d7, v20
	ds_write2_b64 v21, v[13:14], v[15:16] offset1:24
	v_add_f32_e32 v14, v110, v112
	v_add_f32_e32 v15, v111, v113
	v_fmac_f32_e32 v28, 0x3f5db3d7, v17
	v_fmac_f32_e32 v29, 0xbf5db3d7, v20
	v_add_f32_e32 v13, v30, v110
	v_fma_f32 v30, -0.5, v14, v30
	v_add_f32_e32 v14, v31, v111
	v_fmac_f32_e32 v31, -0.5, v15
	v_mul_u32_u24_e32 v15, 0x240, v94
	v_lshlrev_b32_e32 v16, 3, v95
	ds_write_b64 v21, v[28:29] offset:384
	;; [unrolled: 21-line block ×4, first 2 shown]
	v_sub_f32_e32 v17, v36, v38
	v_sub_f32_e32 v20, v35, v37
	v_add3_u32 v21, 0, v15, v16
	v_mov_b32_e32 v15, v18
	v_mov_b32_e32 v16, v19
	v_add_f32_e32 v13, v13, v37
	v_add_f32_e32 v14, v14, v38
	v_fmac_f32_e32 v15, 0xbf5db3d7, v17
	v_fmac_f32_e32 v16, 0x3f5db3d7, v20
	ds_write2_b64 v21, v[13:14], v[15:16] offset1:24
	v_add_u32_e32 v13, -9, v48
	v_mov_b32_e32 v67, 0
	v_cndmask_b32_e64 v45, v13, v50, s[0:1]
	v_fmac_f32_e32 v18, 0x3f5db3d7, v17
	v_fmac_f32_e32 v19, 0xbf5db3d7, v20
	v_lshlrev_b64 v[37:38], 3, v[66:67]
	v_lshlrev_b32_e32 v66, 1, v45
	ds_write_b64 v21, v[18:19] offset:384
	v_lshlrev_b64 v[13:14], 3, v[66:67]
	v_mov_b32_e32 v21, 57
	v_mul_lo_u16_sdwa v17, v65, v21 dst_sel:DWORD dst_unused:UNUSED_PAD src0_sel:BYTE_0 src1_sel:DWORD
	v_mov_b32_e32 v39, s9
	v_add_co_u32_e64 v13, s[0:1], s8, v13
	v_lshrrev_b16_e32 v46, 12, v17
	v_mul_lo_u16_sdwa v21, v64, v21 dst_sel:DWORD dst_unused:UNUSED_PAD src0_sel:BYTE_0 src1_sel:DWORD
	v_addc_co_u32_e64 v14, s[0:1], v39, v14, s[0:1]
	v_mul_lo_u16_e32 v17, 0x48, v46
	v_lshrrev_b16_e32 v66, 12, v21
	s_waitcnt lgkmcnt(0)
	; wave barrier
	s_waitcnt lgkmcnt(0)
	global_load_dwordx4 v[13:16], v[13:14], off offset:560
	v_sub_u16_e32 v47, v65, v17
	v_mul_lo_u16_e32 v21, 0x48, v66
	v_lshlrev_b32_sdwa v17, v3, v47 dst_sel:DWORD dst_unused:UNUSED_PAD src0_sel:DWORD src1_sel:BYTE_0
	v_sub_u16_e32 v91, v64, v21
	global_load_dwordx4 v[17:20], v17, s[8:9] offset:560
	v_lshlrev_b32_sdwa v3, v3, v91 dst_sel:DWORD dst_unused:UNUSED_PAD src0_sel:DWORD src1_sel:BYTE_0
	global_load_dwordx4 v[21:24], v3, s[8:9] offset:560
	v_mul_u32_u24_sdwa v3, v59, s2 dst_sel:DWORD dst_unused:UNUSED_PAD src0_sel:WORD_0 src1_sel:DWORD
	v_lshrrev_b32_e32 v92, 22, v3
	v_mul_lo_u16_e32 v3, 0x48, v92
	v_sub_u16_e32 v93, v59, v3
	v_lshlrev_b32_e32 v3, 4, v93
	global_load_dwordx4 v[25:28], v3, s[8:9] offset:560
	v_mul_u32_u24_sdwa v3, v61, s2 dst_sel:DWORD dst_unused:UNUSED_PAD src0_sel:WORD_0 src1_sel:DWORD
	v_lshrrev_b32_e32 v94, 22, v3
	v_mul_lo_u16_e32 v3, 0x48, v94
	v_sub_u16_e32 v95, v61, v3
	v_add_co_u32_e64 v37, s[0:1], s8, v37
	v_lshlrev_b32_e32 v3, 4, v95
	v_addc_co_u32_e64 v38, s[0:1], v39, v38, s[0:1]
	global_load_dwordx4 v[29:32], v3, s[8:9] offset:560
	v_cmp_lt_u32_e64 s[0:1], 8, v48
	global_load_dwordx4 v[37:40], v[37:38], off offset:560
	v_mul_u32_u24_sdwa v3, v63, s2 dst_sel:DWORD dst_unused:UNUSED_PAD src0_sel:WORD_0 src1_sel:DWORD
	v_lshrrev_b32_e32 v96, 22, v3
	v_mul_lo_u16_e32 v3, 0x48, v96
	v_sub_u16_e32 v97, v63, v3
	v_lshlrev_b32_e32 v3, 4, v97
	global_load_dwordx4 v[33:36], v3, s[8:9] offset:560
	v_mul_u32_u24_sdwa v3, v58, s2 dst_sel:DWORD dst_unused:UNUSED_PAD src0_sel:WORD_0 src1_sel:DWORD
	v_lshrrev_b32_e32 v3, 22, v3
	v_mul_lo_u16_e32 v3, 0x48, v3
	v_sub_u16_e32 v98, v58, v3
	v_lshlrev_b32_e32 v3, 4, v98
	global_load_dwordx4 v[41:44], v3, s[8:9] offset:560
	ds_read2_b64 v[68:71], v11 offset0:55 offset1:118
	ds_read2_b64 v[72:75], v6 offset0:47 offset1:110
	s_waitcnt vmcnt(7) lgkmcnt(1)
	v_mul_f32_e32 v99, v14, v69
	v_mul_f32_e32 v3, v14, v68
	v_fmac_f32_e32 v99, v13, v68
	v_fma_f32 v68, v13, v69, -v3
	s_waitcnt lgkmcnt(0)
	v_mul_f32_e32 v69, v73, v16
	v_mul_f32_e32 v3, v72, v16
	v_fmac_f32_e32 v69, v72, v15
	v_fma_f32 v72, v73, v15, -v3
	s_waitcnt vmcnt(6)
	v_mul_f32_e32 v73, v71, v18
	v_mul_f32_e32 v3, v70, v18
	v_fmac_f32_e32 v73, v70, v17
	v_fma_f32 v70, v71, v17, -v3
	v_mul_f32_e32 v71, v75, v20
	ds_read2_b64 v[13:16], v11 offset0:181 offset1:244
	v_mul_f32_e32 v3, v74, v20
	v_fmac_f32_e32 v71, v74, v19
	v_fma_f32 v74, v75, v19, -v3
	ds_read2_b64 v[17:20], v6 offset0:173 offset1:236
	s_waitcnt vmcnt(5) lgkmcnt(1)
	v_mul_f32_e32 v3, v13, v22
	v_fma_f32 v100, v14, v21, -v3
	v_mul_f32_e32 v75, v14, v22
	s_waitcnt vmcnt(4)
	v_mul_f32_e32 v103, v16, v26
	s_waitcnt lgkmcnt(0)
	v_mul_f32_e32 v3, v17, v24
	v_fma_f32 v102, v18, v23, -v3
	v_mul_f32_e32 v3, v15, v26
	v_fmac_f32_e32 v75, v13, v21
	v_mul_f32_e32 v101, v18, v24
	v_fmac_f32_e32 v103, v15, v25
	v_fma_f32 v104, v16, v25, -v3
	v_mul_f32_e32 v105, v20, v28
	ds_read2_b64 v[13:16], v8 offset0:51 offset1:114
	v_mul_f32_e32 v3, v19, v28
	v_fmac_f32_e32 v101, v17, v23
	v_fmac_f32_e32 v105, v19, v27
	v_fma_f32 v106, v20, v27, -v3
	ds_read2_b64 v[17:20], v10 offset0:43 offset1:106
	s_waitcnt vmcnt(3) lgkmcnt(1)
	v_mul_f32_e32 v107, v14, v30
	v_mul_f32_e32 v3, v13, v30
	v_fmac_f32_e32 v107, v13, v29
	v_fma_f32 v29, v14, v29, -v3
	s_waitcnt lgkmcnt(0)
	v_mul_f32_e32 v30, v18, v32
	v_mul_f32_e32 v3, v17, v32
	v_fmac_f32_e32 v30, v17, v31
	v_fma_f32 v31, v18, v31, -v3
	s_waitcnt vmcnt(1)
	v_mul_f32_e32 v32, v16, v34
	v_mul_f32_e32 v3, v15, v34
	;; [unrolled: 1-line block ×3, first 2 shown]
	ds_read_b64 v[17:18], v2
	v_mul_f32_e32 v2, v19, v36
	v_fmac_f32_e32 v32, v15, v33
	v_fma_f32 v33, v16, v33, -v3
	v_fmac_f32_e32 v34, v19, v35
	v_fma_f32 v35, v20, v35, -v2
	ds_read2_b64 v[13:16], v8 offset0:177 offset1:240
	ds_read_b64 v[2:3], v1
	s_waitcnt lgkmcnt(2)
	v_mul_f32_e32 v1, v38, v18
	v_fmac_f32_e32 v1, v37, v17
	v_mul_f32_e32 v17, v38, v17
	s_waitcnt lgkmcnt(1)
	v_mul_f32_e32 v22, v40, v16
	v_fmac_f32_e32 v22, v39, v15
	v_mul_f32_e32 v15, v40, v15
	v_fma_f32 v23, v39, v16, -v15
	ds_read_b64 v[15:16], v76 offset:11592
	s_waitcnt vmcnt(0)
	v_mul_f32_e32 v36, v14, v42
	v_fmac_f32_e32 v36, v13, v41
	v_mul_f32_e32 v13, v13, v42
	v_fma_f32 v21, v37, v18, -v17
	v_fma_f32 v37, v14, v41, -v13
	ds_read_b64 v[13:14], v86
	ds_read_b64 v[17:18], v87
	;; [unrolled: 1-line block ×3, first 2 shown]
	s_waitcnt lgkmcnt(3)
	v_mul_f32_e32 v38, v16, v44
	v_fmac_f32_e32 v38, v15, v43
	v_mul_f32_e32 v15, v15, v44
	v_fma_f32 v39, v16, v43, -v15
	v_add_f32_e32 v16, v1, v22
	s_waitcnt lgkmcnt(0)
	v_add_f32_e32 v15, v19, v1
	v_fma_f32 v19, -0.5, v16, v19
	v_add_f32_e32 v16, v20, v21
	v_sub_f32_e32 v40, v21, v23
	v_add_f32_e32 v21, v21, v23
	v_fmac_f32_e32 v20, -0.5, v21
	v_add_f32_e32 v15, v15, v22
	v_sub_f32_e32 v41, v1, v22
	v_mov_b32_e32 v21, v19
	v_mov_b32_e32 v22, v20
	v_add_f32_e32 v16, v16, v23
	v_fmac_f32_e32 v21, 0xbf5db3d7, v40
	v_fmac_f32_e32 v22, 0x3f5db3d7, v41
	;; [unrolled: 1-line block ×4, first 2 shown]
	ds_read_b64 v[23:24], v84
	ds_read_b64 v[25:26], v85
	;; [unrolled: 1-line block ×4, first 2 shown]
	s_waitcnt lgkmcnt(0)
	; wave barrier
	s_waitcnt lgkmcnt(0)
	ds_write2_b64 v76, v[15:16], v[21:22] offset1:72
	ds_write_b64 v76, v[19:20] offset:1152
	v_add_f32_e32 v16, v99, v69
	v_add_f32_e32 v19, v68, v72
	;; [unrolled: 1-line block ×3, first 2 shown]
	v_fma_f32 v17, -0.5, v16, v17
	v_add_f32_e32 v16, v18, v68
	v_fmac_f32_e32 v18, -0.5, v19
	v_mov_b32_e32 v19, 0x6c0
	v_cndmask_b32_e64 v19, 0, v19, s[0:1]
	v_lshlrev_b32_e32 v20, 3, v45
	v_sub_f32_e32 v21, v68, v72
	v_sub_f32_e32 v22, v99, v69
	v_add3_u32 v40, 0, v19, v20
	v_mov_b32_e32 v19, v17
	v_mov_b32_e32 v20, v18
	v_add_f32_e32 v15, v15, v69
	v_add_f32_e32 v16, v16, v72
	v_fmac_f32_e32 v19, 0xbf5db3d7, v21
	v_fmac_f32_e32 v20, 0x3f5db3d7, v22
	;; [unrolled: 1-line block ×4, first 2 shown]
	ds_write2_b64 v40, v[15:16], v[19:20] offset1:72
	ds_write_b64 v40, v[17:18] offset:1152
	v_add_f32_e32 v16, v73, v71
	v_add_f32_e32 v17, v70, v74
	;; [unrolled: 1-line block ×3, first 2 shown]
	v_fma_f32 v13, -0.5, v16, v13
	v_add_f32_e32 v16, v14, v70
	v_fmac_f32_e32 v14, -0.5, v17
	v_mul_u32_u24_e32 v17, 0x6c0, v46
	v_lshlrev_b32_sdwa v18, v12, v47 dst_sel:DWORD dst_unused:UNUSED_PAD src0_sel:DWORD src1_sel:BYTE_0
	v_sub_f32_e32 v19, v70, v74
	v_sub_f32_e32 v20, v73, v71
	v_add3_u32 v21, 0, v17, v18
	v_mov_b32_e32 v17, v13
	v_mov_b32_e32 v18, v14
	v_add_f32_e32 v15, v15, v71
	v_add_f32_e32 v16, v16, v74
	v_fmac_f32_e32 v17, 0xbf5db3d7, v19
	v_fmac_f32_e32 v18, 0x3f5db3d7, v20
	;; [unrolled: 1-line block ×4, first 2 shown]
	ds_write2_b64 v21, v[15:16], v[17:18] offset1:72
	ds_write_b64 v21, v[13:14] offset:1152
	v_add_f32_e32 v14, v75, v101
	v_add_f32_e32 v15, v100, v102
	;; [unrolled: 1-line block ×3, first 2 shown]
	v_fma_f32 v23, -0.5, v14, v23
	v_add_f32_e32 v14, v24, v100
	v_fmac_f32_e32 v24, -0.5, v15
	v_lshlrev_b32_sdwa v12, v12, v91 dst_sel:DWORD dst_unused:UNUSED_PAD src0_sel:DWORD src1_sel:BYTE_0
	v_mul_u32_u24_e32 v15, 0x6c0, v66
	v_sub_f32_e32 v17, v100, v102
	v_sub_f32_e32 v18, v75, v101
	v_add3_u32 v12, 0, v15, v12
	v_mov_b32_e32 v15, v23
	v_mov_b32_e32 v16, v24
	v_add_f32_e32 v13, v13, v101
	v_add_f32_e32 v14, v14, v102
	v_fmac_f32_e32 v15, 0xbf5db3d7, v17
	v_fmac_f32_e32 v16, 0x3f5db3d7, v18
	ds_write2_b64 v12, v[13:14], v[15:16] offset1:72
	v_fmac_f32_e32 v23, 0x3f5db3d7, v17
	v_fmac_f32_e32 v24, 0xbf5db3d7, v18
	v_add_f32_e32 v13, v103, v105
	v_add_f32_e32 v14, v104, v106
	ds_write_b64 v12, v[23:24] offset:1152
	v_add_f32_e32 v12, v25, v103
	v_fma_f32 v25, -0.5, v13, v25
	v_add_f32_e32 v13, v26, v104
	v_fmac_f32_e32 v26, -0.5, v14
	v_mul_u32_u24_e32 v14, 0x6c0, v92
	v_lshlrev_b32_e32 v15, 3, v93
	v_sub_f32_e32 v16, v104, v106
	v_sub_f32_e32 v17, v103, v105
	v_add3_u32 v18, 0, v14, v15
	v_mov_b32_e32 v14, v25
	v_mov_b32_e32 v15, v26
	v_add_f32_e32 v12, v12, v105
	v_add_f32_e32 v13, v13, v106
	v_fmac_f32_e32 v14, 0xbf5db3d7, v16
	v_fmac_f32_e32 v15, 0x3f5db3d7, v17
	ds_write2_b64 v18, v[12:13], v[14:15] offset1:72
	v_add_f32_e32 v13, v107, v30
	v_add_f32_e32 v14, v29, v31
	v_fmac_f32_e32 v25, 0x3f5db3d7, v16
	v_fmac_f32_e32 v26, 0xbf5db3d7, v17
	v_add_f32_e32 v12, v27, v107
	v_fma_f32 v27, -0.5, v13, v27
	v_add_f32_e32 v13, v28, v29
	v_fmac_f32_e32 v28, -0.5, v14
	v_mul_u32_u24_e32 v14, 0x6c0, v94
	v_lshlrev_b32_e32 v15, 3, v95
	ds_write_b64 v18, v[25:26] offset:1152
	v_sub_f32_e32 v16, v29, v31
	v_sub_f32_e32 v17, v107, v30
	v_add3_u32 v18, 0, v14, v15
	v_mov_b32_e32 v14, v27
	v_mov_b32_e32 v15, v28
	v_add_f32_e32 v12, v12, v30
	v_add_f32_e32 v13, v13, v31
	v_fmac_f32_e32 v14, 0xbf5db3d7, v16
	v_fmac_f32_e32 v15, 0x3f5db3d7, v17
	ds_write2_b64 v18, v[12:13], v[14:15] offset1:72
	v_add_f32_e32 v13, v32, v34
	v_add_f32_e32 v14, v33, v35
	v_fmac_f32_e32 v27, 0x3f5db3d7, v16
	v_fmac_f32_e32 v28, 0xbf5db3d7, v17
	v_add_f32_e32 v12, v0, v32
	v_fma_f32 v0, -0.5, v13, v0
	v_add_f32_e32 v13, v1, v33
	v_sub_f32_e32 v16, v33, v35
	v_fmac_f32_e32 v1, -0.5, v14
	v_sub_f32_e32 v17, v32, v34
	v_mul_u32_u24_e32 v14, 0x6c0, v96
	v_lshlrev_b32_e32 v15, 3, v97
	ds_write_b64 v18, v[27:28] offset:1152
	v_add3_u32 v18, 0, v14, v15
	v_mov_b32_e32 v14, v0
	v_mov_b32_e32 v15, v1
	v_fmac_f32_e32 v0, 0x3f5db3d7, v16
	v_fmac_f32_e32 v1, 0xbf5db3d7, v17
	ds_write_b64 v18, v[0:1] offset:1152
	v_add_f32_e32 v1, v2, v36
	v_add_f32_e32 v0, v36, v38
	;; [unrolled: 1-line block ×6, first 2 shown]
	v_fmac_f32_e32 v14, 0xbf5db3d7, v16
	v_fmac_f32_e32 v15, 0x3f5db3d7, v17
	v_fma_f32 v2, -0.5, v0, v2
	v_add_f32_e32 v69, v1, v39
	v_add_f32_e32 v1, v37, v39
	ds_write2_b64 v18, v[12:13], v[14:15] offset1:72
	v_mov_b32_e32 v0, v2
	v_sub_f32_e32 v12, v37, v39
	v_fmac_f32_e32 v3, -0.5, v1
	v_fmac_f32_e32 v0, 0xbf5db3d7, v12
	v_fmac_f32_e32 v2, 0x3f5db3d7, v12
	v_sub_f32_e32 v12, v36, v38
	v_mov_b32_e32 v1, v3
	v_fmac_f32_e32 v1, 0x3f5db3d7, v12
	v_fmac_f32_e32 v3, 0xbf5db3d7, v12
	v_lshl_add_u32 v12, v98, 3, 0
	v_add_u32_e32 v13, 0x2800, v12
	ds_write2_b64 v13, v[68:69], v[0:1] offset0:16 offset1:88
	ds_write_b64 v12, v[2:3] offset:11520
	s_waitcnt lgkmcnt(0)
	; wave barrier
	s_waitcnt lgkmcnt(0)
	ds_read_b64 v[70:71], v86
	ds_read_b64 v[72:73], v87
	ds_read_b64 v[74:75], v76 offset:11376
	ds_read2_b64 v[28:31], v11 offset0:46 offset1:136
	ds_read2_b64 v[40:43], v8 offset0:96 offset1:159
	;; [unrolled: 1-line block ×8, first 2 shown]
	ds_read2_b64 v[12:15], v76 offset1:216
	v_cmp_gt_u32_e64 s[0:1], 27, v48
                                        ; implicit-def: $vgpr7
                                        ; implicit-def: $vgpr11
	s_and_saveexec_b64 s[2:3], s[0:1]
	s_cbranch_execz .LBB0_15
; %bb.14:
	v_add_u32_e32 v4, 0x1a00, v76
	v_add_u32_e32 v8, 0x2700, v76
	ds_read_b64 v[68:69], v84
	ds_read2_b64 v[0:3], v5 offset0:21 offset1:237
	ds_read2_b64 v[4:7], v4 offset0:5 offset1:221
	;; [unrolled: 1-line block ×3, first 2 shown]
.LBB0_15:
	s_or_b64 exec, exec, s[2:3]
	v_mul_u32_u24_e32 v66, 6, v48
	v_lshlrev_b32_e32 v66, 3, v66
	global_load_dwordx4 v[91:94], v66, s[8:9] offset:1744
	global_load_dwordx4 v[95:98], v66, s[8:9] offset:1728
	;; [unrolled: 1-line block ×3, first 2 shown]
	v_mul_i32_i24_e32 v66, 6, v50
	s_mov_b32 s4, 0xbf5ff5aa
	s_mov_b32 s5, 0x3f3bfb3b
	;; [unrolled: 1-line block ×4, first 2 shown]
	s_waitcnt vmcnt(2) lgkmcnt(5)
	v_mul_f32_e32 v109, v94, v37
	s_waitcnt vmcnt(1)
	v_mul_f32_e32 v107, v98, v41
	s_waitcnt vmcnt(0) lgkmcnt(0)
	v_mul_f32_e32 v103, v100, v15
	v_fmac_f32_e32 v103, v99, v14
	v_mul_f32_e32 v14, v100, v14
	v_fma_f32 v104, v99, v15, -v14
	v_mul_f32_e32 v105, v102, v45
	v_mul_f32_e32 v14, v102, v44
	v_fmac_f32_e32 v105, v101, v44
	v_fma_f32 v44, v101, v45, -v14
	v_mul_f32_e32 v14, v96, v30
	v_fma_f32 v106, v95, v31, -v14
	v_mul_f32_e32 v14, v98, v40
	v_fmac_f32_e32 v107, v97, v40
	v_fma_f32 v40, v97, v41, -v14
	v_mul_f32_e32 v14, v92, v18
	v_fma_f32 v108, v91, v19, -v14
	v_mul_f32_e32 v14, v94, v36
	v_fma_f32 v110, v93, v37, -v14
	v_lshlrev_b64 v[14:15], 3, v[66:67]
	v_mul_f32_e32 v41, v92, v19
	v_fmac_f32_e32 v41, v91, v18
	v_add_co_u32_e64 v14, s[2:3], s8, v14
	v_mov_b32_e32 v18, s9
	v_mul_f32_e32 v45, v96, v31
	v_addc_co_u32_e64 v15, s[2:3], v18, v15, s[2:3]
	v_fmac_f32_e32 v45, v95, v30
	v_fmac_f32_e32 v109, v93, v36
	global_load_dwordx4 v[91:94], v[14:15], off offset:1744
	global_load_dwordx4 v[95:98], v[14:15], off offset:1728
	;; [unrolled: 1-line block ×3, first 2 shown]
	v_mul_i32_i24_e32 v66, 6, v65
	s_waitcnt vmcnt(0)
	v_mul_f32_e32 v111, v100, v33
	v_mul_f32_e32 v14, v100, v32
	v_fmac_f32_e32 v111, v99, v32
	v_fma_f32 v99, v99, v33, -v14
	v_mul_f32_e32 v100, v102, v47
	v_mul_f32_e32 v14, v102, v46
	v_fmac_f32_e32 v100, v101, v46
	v_fma_f32 v46, v101, v47, -v14
	;; [unrolled: 4-line block ×6, first 2 shown]
	v_lshlrev_b64 v[14:15], 3, v[66:67]
	v_sub_f32_e32 v24, v107, v45
	v_add_co_u32_e64 v14, s[2:3], s8, v14
	v_addc_co_u32_e64 v15, s[2:3], v18, v15, s[2:3]
	global_load_dwordx4 v[18:21], v[14:15], off offset:1744
	global_load_dwordx4 v[30:33], v[14:15], off offset:1728
	;; [unrolled: 1-line block ×3, first 2 shown]
	v_add_f32_e32 v15, v104, v110
	v_sub_f32_e32 v25, v40, v106
	s_waitcnt lgkmcnt(0)
	; wave barrier
	s_waitcnt vmcnt(2)
	v_mul_f32_e32 v113, v23, v19
	v_mul_f32_e32 v115, v75, v21
	s_waitcnt vmcnt(0)
	v_mul_f32_e32 v14, v34, v37
	v_fma_f32 v67, v35, v36, -v14
	v_mul_f32_e32 v14, v28, v39
	v_fma_f32 v97, v29, v38, -v14
	;; [unrolled: 2-line block ×5, first 2 shown]
	v_mul_f32_e32 v14, v74, v21
	v_mul_f32_e32 v98, v27, v31
	v_fmac_f32_e32 v113, v22, v18
	v_fmac_f32_e32 v115, v74, v20
	v_fma_f32 v74, v75, v20, -v14
	v_add_f32_e32 v14, v103, v109
	v_add_f32_e32 v18, v105, v41
	v_mul_f32_e32 v94, v29, v39
	v_fmac_f32_e32 v98, v26, v30
	v_add_f32_e32 v19, v44, v108
	v_add_f32_e32 v22, v45, v107
	;; [unrolled: 1-line block ×3, first 2 shown]
	v_fmac_f32_e32 v94, v28, v38
	v_add_f32_e32 v23, v106, v40
	v_add_f32_e32 v27, v19, v15
	v_sub_f32_e32 v28, v18, v14
	v_sub_f32_e32 v14, v14, v22
	;; [unrolled: 1-line block ×3, first 2 shown]
	v_add_f32_e32 v22, v22, v26
	v_mul_f32_e32 v66, v35, v37
	v_mul_f32_e32 v102, v17, v33
	v_sub_f32_e32 v17, v104, v110
	v_sub_f32_e32 v20, v105, v41
	;; [unrolled: 1-line block ×6, first 2 shown]
	v_add_f32_e32 v23, v23, v27
	v_add_f32_e32 v12, v12, v22
	v_fmac_f32_e32 v66, v34, v36
	v_fmac_f32_e32 v102, v16, v32
	v_sub_f32_e32 v16, v103, v109
	v_add_f32_e32 v30, v24, v20
	v_add_f32_e32 v31, v25, v21
	v_sub_f32_e32 v32, v24, v20
	v_sub_f32_e32 v33, v25, v21
	;; [unrolled: 1-line block ×3, first 2 shown]
	v_add_f32_e32 v13, v13, v23
	v_mov_b32_e32 v34, v12
	v_sub_f32_e32 v24, v16, v24
	v_sub_f32_e32 v25, v17, v25
	;; [unrolled: 1-line block ×3, first 2 shown]
	v_add_f32_e32 v16, v30, v16
	v_add_f32_e32 v17, v31, v17
	v_mul_f32_e32 v14, 0x3f4a47b2, v14
	v_mul_f32_e32 v15, 0x3f4a47b2, v15
	;; [unrolled: 1-line block ×7, first 2 shown]
	v_fmac_f32_e32 v34, 0xbf955555, v22
	v_mov_b32_e32 v22, v13
	v_mul_f32_e32 v32, 0xbf5ff5aa, v20
	v_fmac_f32_e32 v22, 0xbf955555, v23
	v_fma_f32 v23, v28, s5, -v26
	v_fma_f32 v26, v29, s5, -v27
	;; [unrolled: 1-line block ×3, first 2 shown]
	v_fmac_f32_e32 v14, 0x3d64c772, v18
	v_fma_f32 v18, v29, s6, -v15
	v_fmac_f32_e32 v15, 0x3d64c772, v19
	v_fma_f32 v28, v20, s4, -v30
	;; [unrolled: 2-line block ×4, first 2 shown]
	v_fma_f32 v24, v24, s7, -v32
	v_add_f32_e32 v32, v15, v22
	v_add_f32_e32 v21, v23, v34
	;; [unrolled: 1-line block ×4, first 2 shown]
	v_fmac_f32_e32 v30, 0xbee1c552, v16
	v_fmac_f32_e32 v25, 0xbee1c552, v17
	v_add_f32_e32 v29, v14, v34
	v_add_f32_e32 v27, v18, v22
	v_fmac_f32_e32 v31, 0xbee1c552, v17
	v_fmac_f32_e32 v28, 0xbee1c552, v16
	;; [unrolled: 1-line block ×4, first 2 shown]
	v_sub_f32_e32 v15, v32, v30
	v_add_f32_e32 v16, v25, v26
	v_sub_f32_e32 v22, v26, v25
	v_add_f32_e32 v25, v30, v32
	v_add_f32_e32 v26, v111, v92
	;; [unrolled: 1-line block ×4, first 2 shown]
	v_sub_f32_e32 v17, v27, v24
	v_sub_f32_e32 v18, v21, v20
	v_add_f32_e32 v19, v28, v23
	v_add_f32_e32 v20, v20, v21
	v_sub_f32_e32 v21, v23, v28
	v_add_f32_e32 v23, v24, v27
	v_sub_f32_e32 v24, v29, v31
	v_add_f32_e32 v27, v99, v93
	v_add_f32_e32 v31, v46, v91
	v_sub_f32_e32 v32, v100, v43
	v_add_f32_e32 v34, v47, v96
	v_sub_f32_e32 v36, v96, v47
	;; [unrolled: 2-line block ×3, first 2 shown]
	v_sub_f32_e32 v33, v46, v91
	v_add_f32_e32 v35, v95, v42
	v_sub_f32_e32 v37, v42, v95
	v_add_f32_e32 v39, v31, v27
	v_sub_f32_e32 v40, v30, v26
	v_sub_f32_e32 v42, v26, v34
	;; [unrolled: 1-line block ×3, first 2 shown]
	v_add_f32_e32 v26, v36, v32
	v_add_f32_e32 v34, v34, v38
	v_sub_f32_e32 v29, v99, v93
	v_sub_f32_e32 v41, v31, v27
	;; [unrolled: 1-line block ×4, first 2 shown]
	v_add_f32_e32 v27, v37, v33
	v_sub_f32_e32 v44, v36, v32
	v_sub_f32_e32 v36, v28, v36
	;; [unrolled: 1-line block ×3, first 2 shown]
	v_add_f32_e32 v35, v35, v39
	v_add_f32_e32 v28, v26, v28
	;; [unrolled: 1-line block ×3, first 2 shown]
	v_sub_f32_e32 v45, v37, v33
	v_sub_f32_e32 v37, v29, v37
	;; [unrolled: 1-line block ×3, first 2 shown]
	v_add_f32_e32 v29, v27, v29
	v_add_f32_e32 v27, v73, v35
	v_mov_b32_e32 v72, v26
	v_mul_f32_e32 v38, 0x3f4a47b2, v42
	v_mul_f32_e32 v39, 0x3f4a47b2, v43
	;; [unrolled: 1-line block ×7, first 2 shown]
	v_fmac_f32_e32 v72, 0xbf955555, v34
	v_mov_b32_e32 v34, v27
	v_mul_f32_e32 v45, 0x3f08b237, v45
	v_fmac_f32_e32 v34, 0xbf955555, v35
	v_fma_f32 v35, v40, s5, -v42
	v_fma_f32 v42, v41, s5, -v43
	;; [unrolled: 1-line block ×3, first 2 shown]
	v_fmac_f32_e32 v38, 0x3d64c772, v30
	v_fma_f32 v30, v41, s6, -v39
	v_fmac_f32_e32 v39, 0x3d64c772, v31
	v_fma_f32 v41, v32, s4, -v44
	;; [unrolled: 2-line block ×3, first 2 shown]
	v_fma_f32 v36, v37, s7, -v47
	v_fma_f32 v43, v33, s4, -v45
	v_fmac_f32_e32 v45, 0xbeae86e6, v37
	v_add_f32_e32 v39, v39, v34
	v_add_f32_e32 v40, v40, v72
	v_fmac_f32_e32 v44, 0xbee1c552, v28
	v_fmac_f32_e32 v36, 0xbee1c552, v29
	v_add_f32_e32 v38, v38, v72
	v_add_f32_e32 v35, v35, v72
	;; [unrolled: 1-line block ×4, first 2 shown]
	v_fmac_f32_e32 v45, 0xbee1c552, v29
	v_fmac_f32_e32 v41, 0xbee1c552, v28
	;; [unrolled: 1-line block ×4, first 2 shown]
	v_sub_f32_e32 v29, v39, v44
	v_add_f32_e32 v30, v36, v40
	v_sub_f32_e32 v36, v40, v36
	v_add_f32_e32 v39, v44, v39
	v_add_f32_e32 v40, v66, v115
	;; [unrolled: 1-line block ×4, first 2 shown]
	v_sub_f32_e32 v31, v42, v46
	v_sub_f32_e32 v32, v35, v43
	v_add_f32_e32 v33, v41, v37
	v_add_f32_e32 v34, v43, v35
	v_sub_f32_e32 v35, v37, v41
	v_add_f32_e32 v37, v46, v42
	v_sub_f32_e32 v38, v38, v45
	;; [unrolled: 2-line block ×3, first 2 shown]
	v_sub_f32_e32 v43, v67, v74
	v_add_f32_e32 v45, v97, v114
	v_sub_f32_e32 v46, v94, v113
	v_add_f32_e32 v66, v98, v102
	;; [unrolled: 2-line block ×5, first 2 shown]
	v_sub_f32_e32 v91, v44, v40
	v_sub_f32_e32 v93, v40, v66
	;; [unrolled: 1-line block ×3, first 2 shown]
	v_add_f32_e32 v40, v72, v46
	v_add_f32_e32 v66, v66, v74
	v_sub_f32_e32 v92, v45, v41
	v_sub_f32_e32 v94, v41, v67
	;; [unrolled: 1-line block ×3, first 2 shown]
	v_add_f32_e32 v41, v73, v47
	v_sub_f32_e32 v95, v72, v46
	v_sub_f32_e32 v72, v42, v72
	;; [unrolled: 1-line block ×3, first 2 shown]
	v_add_f32_e32 v67, v67, v75
	v_add_f32_e32 v42, v40, v42
	;; [unrolled: 1-line block ×3, first 2 shown]
	v_sub_f32_e32 v96, v73, v47
	v_sub_f32_e32 v73, v43, v73
	;; [unrolled: 1-line block ×3, first 2 shown]
	v_add_f32_e32 v43, v41, v43
	v_add_f32_e32 v41, v71, v67
	v_mov_b32_e32 v97, v40
	ds_write2_b64 v76, v[12:13], v[14:15] offset1:216
	v_add_u32_e32 v12, 0xd00, v76
	v_mul_f32_e32 v70, 0x3f4a47b2, v93
	v_mul_f32_e32 v71, 0x3f4a47b2, v94
	;; [unrolled: 1-line block ×8, first 2 shown]
	v_fmac_f32_e32 v97, 0xbf955555, v66
	v_mov_b32_e32 v66, v41
	ds_write2_b64 v12, v[16:17], v[18:19] offset0:16 offset1:232
	v_add_u32_e32 v12, 0x1a00, v76
	v_fmac_f32_e32 v66, 0xbf955555, v67
	v_fma_f32 v67, v91, s5, -v74
	v_fma_f32 v74, v92, s5, -v75
	;; [unrolled: 1-line block ×3, first 2 shown]
	v_fmac_f32_e32 v70, 0x3d64c772, v44
	v_fma_f32 v44, v92, s6, -v71
	v_fmac_f32_e32 v71, 0x3d64c772, v45
	v_fma_f32 v91, v46, s4, -v93
	;; [unrolled: 2-line block ×4, first 2 shown]
	v_fma_f32 v73, v73, s7, -v96
	ds_write2_b64 v12, v[20:21], v[22:23] offset0:32 offset1:248
	ds_write_b64 v76, v[24:25] offset:10368
	ds_write2_b64 v87, v[26:27], v[28:29] offset1:216
	v_add_u32_e32 v12, 0xd00, v87
	v_add_f32_e32 v95, v70, v97
	v_add_f32_e32 v96, v71, v66
	;; [unrolled: 1-line block ×6, first 2 shown]
	v_fmac_f32_e32 v93, 0xbee1c552, v42
	v_fmac_f32_e32 v94, 0xbee1c552, v43
	;; [unrolled: 1-line block ×6, first 2 shown]
	ds_write2_b64 v12, v[30:31], v[32:33] offset0:16 offset1:232
	v_add_u32_e32 v12, 0x1a00, v87
	v_add_f32_e32 v42, v94, v95
	v_sub_f32_e32 v43, v96, v93
	v_add_f32_e32 v44, v73, v71
	v_sub_f32_e32 v45, v74, v72
	v_sub_f32_e32 v46, v67, v92
	v_add_f32_e32 v47, v91, v70
	ds_write2_b64 v12, v[34:35], v[36:37] offset0:32 offset1:248
	ds_write_b64 v87, v[38:39] offset:10368
	ds_write2_b64 v86, v[40:41], v[42:43] offset1:216
	v_add_u32_e32 v12, 0xd00, v86
	v_add_f32_e32 v66, v92, v67
	v_sub_f32_e32 v67, v70, v91
	v_sub_f32_e32 v70, v71, v73
	v_add_f32_e32 v71, v72, v74
	ds_write2_b64 v12, v[44:45], v[46:47] offset0:16 offset1:232
	v_add_u32_e32 v12, 0x1a00, v86
	v_sub_f32_e32 v72, v95, v94
	v_add_f32_e32 v73, v93, v96
	ds_write2_b64 v12, v[66:67], v[70:71] offset0:32 offset1:248
	ds_write_b64 v86, v[72:73] offset:10368
	s_and_saveexec_b64 s[2:3], s[0:1]
	s_cbranch_execz .LBB0_17
; %bb.16:
	v_subrev_u32_e32 v12, 27, v48
	v_cndmask_b32_e64 v12, v12, v64, s[0:1]
	v_mul_i32_i24_e32 v12, 6, v12
	v_mov_b32_e32 v13, 0
	v_lshlrev_b64 v[12:13], 3, v[12:13]
	v_mov_b32_e32 v14, s9
	v_add_co_u32_e64 v24, s[0:1], s8, v12
	v_addc_co_u32_e64 v25, s[0:1], v14, v13, s[0:1]
	global_load_dwordx4 v[12:15], v[24:25], off offset:1712
	global_load_dwordx4 v[16:19], v[24:25], off offset:1744
	;; [unrolled: 1-line block ×3, first 2 shown]
	s_waitcnt vmcnt(2)
	v_mul_f32_e32 v24, v1, v13
	s_waitcnt vmcnt(1)
	v_mul_f32_e32 v25, v11, v19
	;; [unrolled: 2-line block ×3, first 2 shown]
	v_mul_f32_e32 v27, v5, v21
	v_mul_f32_e32 v28, v3, v15
	;; [unrolled: 1-line block ×9, first 2 shown]
	v_fmac_f32_e32 v24, v0, v12
	v_fmac_f32_e32 v25, v10, v18
	;; [unrolled: 1-line block ×6, first 2 shown]
	v_fma_f32 v0, v11, v18, -v19
	v_fma_f32 v1, v1, v12, -v13
	;; [unrolled: 1-line block ×6, first 2 shown]
	v_sub_f32_e32 v7, v26, v27
	v_sub_f32_e32 v8, v28, v29
	v_add_f32_e32 v9, v1, v0
	v_add_f32_e32 v10, v2, v4
	;; [unrolled: 1-line block ×6, first 2 shown]
	v_sub_f32_e32 v6, v24, v25
	v_sub_f32_e32 v15, v1, v0
	;; [unrolled: 1-line block ×5, first 2 shown]
	v_add_f32_e32 v3, v7, v8
	v_sub_f32_e32 v5, v9, v10
	v_add_f32_e32 v16, v11, v9
	v_sub_f32_e32 v17, v12, v13
	v_add_f32_e32 v19, v14, v12
	v_sub_f32_e32 v2, v6, v7
	v_sub_f32_e32 v7, v10, v11
	v_sub_f32_e32 v18, v13, v14
	;; [unrolled: 1-line block ×4, first 2 shown]
	v_add_f32_e32 v0, v0, v4
	v_sub_f32_e32 v8, v8, v6
	v_sub_f32_e32 v9, v11, v9
	v_mul_f32_e32 v11, 0x3f08b237, v1
	v_add_f32_e32 v6, v3, v6
	v_mul_f32_e32 v5, 0x3f4a47b2, v5
	v_add_f32_e32 v3, v10, v16
	;; [unrolled: 2-line block ×4, first 2 shown]
	v_mul_f32_e32 v21, 0xbf5ff5aa, v8
	v_mov_b32_e32 v23, v11
	v_mov_b32_e32 v24, v5
	v_add_f32_e32 v1, v69, v3
	v_mov_b32_e32 v25, v10
	v_add_f32_e32 v0, v68, v13
	v_mul_f32_e32 v22, 0x3d64c772, v7
	v_mul_f32_e32 v16, 0x3d64c772, v18
	v_mov_b32_e32 v26, v17
	v_fma_f32 v21, v2, s7, -v21
	v_fmac_f32_e32 v23, 0xbeae86e6, v2
	v_fmac_f32_e32 v24, 0x3d64c772, v7
	v_mov_b32_e32 v7, v1
	v_fmac_f32_e32 v25, 0x3d64c772, v18
	v_mov_b32_e32 v18, v0
	v_sub_f32_e32 v12, v14, v12
	v_sub_f32_e32 v14, v4, v15
	v_fma_f32 v8, v8, s4, -v11
	v_fmac_f32_e32 v26, 0xbeae86e6, v20
	v_fmac_f32_e32 v21, 0xbee1c552, v6
	;; [unrolled: 1-line block ×5, first 2 shown]
	v_fma_f32 v5, v9, s6, -v5
	v_mul_f32_e32 v4, 0xbf5ff5aa, v14
	v_fma_f32 v9, v9, s5, -v22
	v_fmac_f32_e32 v8, 0xbee1c552, v6
	v_fma_f32 v11, v14, s4, -v17
	v_fma_f32 v6, v12, s5, -v16
	v_fmac_f32_e32 v26, 0xbee1c552, v19
	v_add_f32_e32 v13, v24, v7
	v_add_f32_e32 v24, v25, v18
	v_fma_f32 v10, v12, s6, -v10
	v_fma_f32 v15, v20, s7, -v4
	v_add_f32_e32 v9, v9, v7
	v_fmac_f32_e32 v11, 0xbee1c552, v19
	v_add_f32_e32 v12, v6, v18
	v_add_f32_e32 v3, v23, v13
	;; [unrolled: 1-line block ×4, first 2 shown]
	v_fmac_f32_e32 v15, 0xbee1c552, v19
	v_sub_f32_e32 v7, v9, v8
	v_add_f32_e32 v6, v11, v12
	v_add_f32_e32 v9, v8, v9
	v_sub_f32_e32 v8, v12, v11
	v_sub_f32_e32 v13, v13, v23
	v_add_f32_e32 v12, v26, v24
	v_add_u32_e32 v14, 0x500, v76
	v_sub_f32_e32 v4, v10, v15
	v_sub_f32_e32 v11, v25, v21
	v_add_f32_e32 v10, v15, v10
	ds_write2_b64 v14, v[0:1], v[12:13] offset0:29 offset1:245
	v_add_u32_e32 v0, 0x1300, v76
	v_add_f32_e32 v5, v21, v25
	ds_write2_b64 v0, v[10:11], v[8:9] offset0:13 offset1:229
	v_add_u32_e32 v0, 0x2000, v76
	v_sub_f32_e32 v2, v24, v26
	ds_write2_b64 v0, v[6:7], v[4:5] offset0:29 offset1:245
	ds_write_b64 v76, v[2:3] offset:11880
.LBB0_17:
	s_or_b64 exec, exec, s[2:3]
	s_waitcnt lgkmcnt(0)
	; wave barrier
	s_waitcnt lgkmcnt(0)
	ds_read_b64 v[2:3], v76
	s_add_u32 s4, s8, 0x2f30
	s_addc_u32 s5, s9, 0
	v_sub_u32_e32 v4, 0, v49
	v_cmp_ne_u32_e64 s[0:1], 0, v48
                                        ; implicit-def: $vgpr1
                                        ; implicit-def: $vgpr11
	s_and_saveexec_b64 s[2:3], s[0:1]
	s_xor_b64 s[2:3], exec, s[2:3]
	s_cbranch_execz .LBB0_19
; %bb.18:
	v_mov_b32_e32 v49, 0
	v_lshlrev_b64 v[0:1], 3, v[48:49]
	v_mov_b32_e32 v5, s5
	v_add_co_u32_e64 v0, s[0:1], s4, v0
	v_addc_co_u32_e64 v1, s[0:1], v5, v1, s[0:1]
	global_load_dwordx2 v[5:6], v[0:1], off
	ds_read_b64 v[0:1], v4 offset:12096
	s_waitcnt lgkmcnt(0)
	v_add_f32_e32 v7, v0, v2
	v_sub_f32_e32 v0, v2, v0
	v_add_f32_e32 v8, v1, v3
	v_sub_f32_e32 v1, v3, v1
	v_mul_f32_e32 v3, 0.5, v0
	v_mul_f32_e32 v0, 0.5, v1
	;; [unrolled: 1-line block ×3, first 2 shown]
	s_waitcnt vmcnt(0)
	v_mul_f32_e32 v1, v6, v3
	v_fma_f32 v9, 0.5, v7, v1
	v_fma_f32 v8, v2, v6, v0
	v_fma_f32 v6, v2, v6, -v0
	v_fma_f32 v0, v7, 0.5, -v1
	v_fmac_f32_e32 v9, v5, v2
	v_fma_f32 v11, -v5, v3, v8
	v_fma_f32 v0, -v5, v2, v0
	ds_write_b32 v76, v9
	v_fma_f32 v1, -v5, v3, v6
                                        ; implicit-def: $vgpr2_vgpr3
.LBB0_19:
	s_or_saveexec_b64 s[0:1], s[2:3]
	v_sub_u32_e32 v10, 0, v51
	v_sub_u32_e32 v9, 0, v62
	;; [unrolled: 1-line block ×6, first 2 shown]
	s_xor_b64 exec, exec, s[0:1]
	s_cbranch_execz .LBB0_21
; %bb.20:
	v_mov_b32_e32 v11, 0
	ds_read_b32 v1, v11 offset:6052
	s_waitcnt lgkmcnt(1)
	v_add_f32_e32 v12, v2, v3
	v_sub_f32_e32 v0, v2, v3
	ds_write_b32 v76, v12
	s_waitcnt lgkmcnt(1)
	v_xor_b32_e32 v1, 0x80000000, v1
	ds_write_b32 v11, v1 offset:6052
	v_mov_b32_e32 v1, v11
.LBB0_21:
	s_or_b64 exec, exec, s[0:1]
	v_mov_b32_e32 v51, 0
	s_waitcnt lgkmcnt(0)
	v_lshlrev_b64 v[2:3], 3, v[50:51]
	v_mov_b32_e32 v12, s5
	v_add_co_u32_e64 v2, s[0:1], s4, v2
	v_addc_co_u32_e64 v3, s[0:1], v12, v3, s[0:1]
	global_load_dwordx2 v[2:3], v[2:3], off
	v_mov_b32_e32 v66, v51
	v_lshlrev_b64 v[12:13], 3, v[65:66]
	v_mov_b32_e32 v14, s5
	v_add_co_u32_e64 v12, s[0:1], s4, v12
	v_addc_co_u32_e64 v13, s[0:1], v14, v13, s[0:1]
	global_load_dwordx2 v[12:13], v[12:13], off
	v_mov_b32_e32 v65, v51
	;; [unrolled: 6-line block ×3, first 2 shown]
	v_lshlrev_b64 v[18:19], 3, v[59:60]
	ds_write_b32 v76, v11 offset:4
	ds_write_b64 v4, v[0:1] offset:12096
	v_mov_b32_e32 v11, s5
	v_add_co_u32_e64 v18, s[0:1], s4, v18
	v_addc_co_u32_e64 v19, s[0:1], v11, v19, s[0:1]
	ds_read_b64 v[0:1], v87
	ds_read_b64 v[16:17], v4 offset:11592
	global_load_dwordx2 v[18:19], v[18:19], off
	v_mov_b32_e32 v62, v51
	v_lshlrev_b64 v[20:21], 3, v[61:62]
	v_mov_b32_e32 v24, s5
	s_waitcnt lgkmcnt(0)
	v_add_f32_e32 v11, v0, v16
	v_sub_f32_e32 v0, v0, v16
	v_add_f32_e32 v26, v1, v17
	v_sub_f32_e32 v1, v1, v17
	v_mul_f32_e32 v17, 0.5, v0
	v_mul_f32_e32 v16, 0.5, v26
	;; [unrolled: 1-line block ×3, first 2 shown]
	v_mov_b32_e32 v64, v51
	v_lshlrev_b64 v[22:23], 3, v[63:64]
	v_mov_b32_e32 v25, s5
	v_mov_b32_e32 v59, v51
	v_add_u32_e32 v10, v82, v10
	v_add_u32_e32 v8, v80, v8
	;; [unrolled: 1-line block ×5, first 2 shown]
	s_waitcnt vmcnt(3)
	v_mul_f32_e32 v26, v3, v17
	v_fma_f32 v1, v16, v3, v0
	v_fma_f32 v3, v16, v3, -v0
	v_fma_f32 v0, 0.5, v11, v26
	v_fma_f32 v1, -v2, v17, v1
	v_fma_f32 v11, v11, 0.5, -v26
	v_fmac_f32_e32 v0, v2, v16
	v_fma_f32 v3, -v2, v17, v3
	v_fma_f32 v2, -v2, v16, v11
	ds_write_b64 v87, v[0:1]
	ds_write_b64 v4, v[2:3] offset:11592
	ds_read_b64 v[0:1], v86
	ds_read_b64 v[2:3], v4 offset:11088
	v_add_co_u32_e64 v16, s[0:1], s4, v20
	v_addc_co_u32_e64 v17, s[0:1], v24, v21, s[0:1]
	s_waitcnt lgkmcnt(0)
	v_add_f32_e32 v11, v0, v2
	v_sub_f32_e32 v0, v0, v2
	global_load_dwordx2 v[16:17], v[16:17], off
	v_add_f32_e32 v20, v1, v3
	v_sub_f32_e32 v1, v1, v3
	v_mul_f32_e32 v3, 0.5, v0
	v_mul_f32_e32 v2, 0.5, v20
	;; [unrolled: 1-line block ×3, first 2 shown]
	s_waitcnt vmcnt(3)
	v_mul_f32_e32 v20, v13, v3
	v_fma_f32 v1, v2, v13, v0
	v_fma_f32 v13, v2, v13, -v0
	v_fma_f32 v0, 0.5, v11, v20
	v_fma_f32 v1, -v12, v3, v1
	v_fma_f32 v11, v11, 0.5, -v20
	v_fmac_f32_e32 v0, v12, v2
	v_fma_f32 v3, -v12, v3, v13
	v_fma_f32 v2, -v12, v2, v11
	ds_write_b64 v86, v[0:1]
	ds_write_b64 v4, v[2:3] offset:11088
	ds_read_b64 v[0:1], v84
	ds_read_b64 v[2:3], v4 offset:10584
	v_add_co_u32_e64 v11, s[0:1], s4, v22
	v_addc_co_u32_e64 v12, s[0:1], v25, v23, s[0:1]
	s_waitcnt lgkmcnt(0)
	v_add_f32_e32 v13, v0, v2
	v_sub_f32_e32 v0, v0, v2
	v_add_f32_e32 v20, v1, v3
	v_sub_f32_e32 v1, v1, v3
	v_mul_f32_e32 v3, 0.5, v0
	v_mul_f32_e32 v2, 0.5, v20
	;; [unrolled: 1-line block ×3, first 2 shown]
	s_waitcnt vmcnt(2)
	v_mul_f32_e32 v20, v15, v3
	global_load_dwordx2 v[11:12], v[11:12], off
	v_fma_f32 v1, v2, v15, v0
	v_fma_f32 v15, v2, v15, -v0
	v_fma_f32 v0, 0.5, v13, v20
	v_fma_f32 v1, -v14, v3, v1
	v_fma_f32 v13, v13, 0.5, -v20
	v_fmac_f32_e32 v0, v14, v2
	v_fma_f32 v3, -v14, v3, v15
	v_fma_f32 v2, -v14, v2, v13
	ds_write_b64 v84, v[0:1]
	ds_write_b64 v4, v[2:3] offset:10584
	ds_read_b64 v[0:1], v85
	ds_read_b64 v[2:3], v4 offset:10080
	s_waitcnt lgkmcnt(0)
	v_add_f32_e32 v13, v0, v2
	v_sub_f32_e32 v0, v0, v2
	v_add_f32_e32 v14, v1, v3
	v_sub_f32_e32 v1, v1, v3
	v_mul_f32_e32 v3, 0.5, v0
	v_mul_f32_e32 v2, 0.5, v14
	v_mul_f32_e32 v14, 0.5, v1
	s_waitcnt vmcnt(2)
	v_mul_f32_e32 v15, v19, v3
	v_fma_f32 v0, 0.5, v13, v15
	v_fma_f32 v1, v2, v19, v14
	v_fmac_f32_e32 v0, v18, v2
	v_fma_f32 v1, -v18, v3, v1
	ds_write_b64 v85, v[0:1]
	v_fma_f32 v0, v13, 0.5, -v15
	v_fma_f32 v1, v2, v19, -v14
	v_fma_f32 v0, -v18, v2, v0
	v_fma_f32 v1, -v18, v3, v1
	ds_write_b64 v4, v[0:1] offset:10080
	v_lshlrev_b64 v[0:1], 3, v[58:59]
	v_mov_b32_e32 v2, s5
	v_add_co_u32_e64 v0, s[0:1], s4, v0
	v_addc_co_u32_e64 v1, s[0:1], v2, v1, s[0:1]
	global_load_dwordx2 v[0:1], v[0:1], off
	ds_read_b64 v[2:3], v83
	ds_read_b64 v[13:14], v4 offset:9576
	v_mov_b32_e32 v58, v51
	s_waitcnt lgkmcnt(0)
	v_add_f32_e32 v15, v2, v13
	v_add_f32_e32 v18, v3, v14
	v_sub_f32_e32 v2, v2, v13
	v_sub_f32_e32 v3, v3, v14
	v_mul_f32_e32 v19, 0.5, v2
	v_mul_f32_e32 v20, 0.5, v3
	v_lshlrev_b64 v[2:3], 3, v[57:58]
	v_mul_f32_e32 v18, 0.5, v18
	v_mov_b32_e32 v13, s5
	v_add_co_u32_e64 v2, s[0:1], s4, v2
	s_waitcnt vmcnt(2)
	v_mul_f32_e32 v21, v17, v19
	v_addc_co_u32_e64 v3, s[0:1], v13, v3, s[0:1]
	v_fma_f32 v13, 0.5, v15, v21
	v_fma_f32 v14, v18, v17, v20
	v_fmac_f32_e32 v13, v16, v18
	v_fma_f32 v14, -v16, v19, v14
	ds_write_b64 v83, v[13:14]
	v_fma_f32 v13, v15, 0.5, -v21
	v_fma_f32 v14, v18, v17, -v20
	v_fma_f32 v13, -v16, v18, v13
	v_fma_f32 v14, -v16, v19, v14
	ds_write_b64 v4, v[13:14] offset:9576
	global_load_dwordx2 v[2:3], v[2:3], off
	ds_read_b64 v[13:14], v10
	ds_read_b64 v[15:16], v4 offset:9072
	v_mov_b32_e32 v57, v51
	s_waitcnt lgkmcnt(0)
	v_add_f32_e32 v17, v13, v15
	v_sub_f32_e32 v13, v13, v15
	v_add_f32_e32 v18, v14, v16
	v_sub_f32_e32 v14, v14, v16
	v_mul_f32_e32 v15, 0.5, v13
	v_mul_f32_e32 v18, 0.5, v18
	;; [unrolled: 1-line block ×3, first 2 shown]
	s_waitcnt vmcnt(2)
	v_mul_f32_e32 v19, v12, v15
	v_fma_f32 v13, 0.5, v17, v19
	v_fma_f32 v14, v18, v12, v16
	v_fmac_f32_e32 v13, v11, v18
	v_fma_f32 v14, -v11, v15, v14
	ds_write_b64 v10, v[13:14]
	v_fma_f32 v10, v17, 0.5, -v19
	v_fma_f32 v12, v18, v12, -v16
	v_fma_f32 v10, -v11, v18, v10
	v_fma_f32 v11, -v11, v15, v12
	ds_write_b64 v4, v[10:11] offset:9072
	v_add_u32_e32 v15, v81, v9
	v_lshlrev_b64 v[9:10], 3, v[56:57]
	v_mov_b32_e32 v11, s5
	v_add_co_u32_e64 v9, s[0:1], s4, v9
	v_addc_co_u32_e64 v10, s[0:1], v11, v10, s[0:1]
	global_load_dwordx2 v[9:10], v[9:10], off
	ds_read_b64 v[11:12], v15
	ds_read_b64 v[13:14], v4 offset:8568
	v_mov_b32_e32 v56, v51
	s_waitcnt lgkmcnt(0)
	v_add_f32_e32 v17, v12, v14
	v_sub_f32_e32 v12, v12, v14
	v_add_f32_e32 v16, v11, v13
	v_sub_f32_e32 v11, v11, v13
	v_mul_f32_e32 v19, 0.5, v12
	v_lshlrev_b64 v[12:13], 3, v[55:56]
	v_mul_f32_e32 v18, 0.5, v11
	v_mul_f32_e32 v17, 0.5, v17
	v_mov_b32_e32 v14, s5
	v_add_co_u32_e64 v12, s[0:1], s4, v12
	v_addc_co_u32_e64 v13, s[0:1], v14, v13, s[0:1]
	s_waitcnt vmcnt(2)
	v_mul_f32_e32 v20, v1, v18
	v_fma_f32 v11, 0.5, v16, v20
	v_fma_f32 v21, v17, v1, v19
	v_fmac_f32_e32 v11, v0, v17
	global_load_dwordx2 v[13:14], v[12:13], off
	v_fma_f32 v12, -v0, v18, v21
	ds_write_b64 v15, v[11:12]
	v_fma_f32 v11, v16, 0.5, -v20
	v_fma_f32 v1, v17, v1, -v19
	v_fma_f32 v11, -v0, v17, v11
	v_fma_f32 v12, -v0, v18, v1
	ds_write_b64 v4, v[11:12] offset:8568
	ds_read_b64 v[0:1], v8
	ds_read_b64 v[11:12], v4 offset:8064
	v_mov_b32_e32 v55, v51
	v_mov_b32_e32 v19, s5
	s_waitcnt lgkmcnt(0)
	v_add_f32_e32 v15, v1, v12
	v_mul_f32_e32 v18, 0.5, v15
	v_lshlrev_b64 v[15:16], 3, v[54:55]
	v_add_f32_e32 v17, v0, v11
	v_add_co_u32_e64 v15, s[0:1], s4, v15
	v_addc_co_u32_e64 v16, s[0:1], v19, v16, s[0:1]
	global_load_dwordx2 v[15:16], v[15:16], off
	v_sub_f32_e32 v0, v0, v11
	v_sub_f32_e32 v1, v1, v12
	v_mul_f32_e32 v11, 0.5, v0
	v_mul_f32_e32 v12, 0.5, v1
	s_waitcnt vmcnt(3)
	v_mul_f32_e32 v19, v3, v11
	v_fma_f32 v0, 0.5, v17, v19
	v_fma_f32 v1, v18, v3, v12
	v_fmac_f32_e32 v0, v2, v18
	v_fma_f32 v1, -v2, v11, v1
	ds_write_b64 v8, v[0:1]
	v_fma_f32 v0, v17, 0.5, -v19
	v_fma_f32 v1, v18, v3, -v12
	v_fma_f32 v0, -v2, v18, v0
	v_fma_f32 v1, -v2, v11, v1
	ds_write_b64 v4, v[0:1] offset:8064
	ds_read_b64 v[0:1], v7
	ds_read_b64 v[2:3], v4 offset:7560
	s_waitcnt lgkmcnt(0)
	v_add_f32_e32 v8, v0, v2
	v_sub_f32_e32 v0, v0, v2
	v_add_f32_e32 v11, v1, v3
	v_sub_f32_e32 v1, v1, v3
	v_mul_f32_e32 v2, 0.5, v0
	v_mul_f32_e32 v11, 0.5, v11
	v_mul_f32_e32 v3, 0.5, v1
	s_waitcnt vmcnt(2)
	v_mul_f32_e32 v12, v10, v2
	v_fma_f32 v0, 0.5, v8, v12
	v_fma_f32 v1, v11, v10, v3
	v_fmac_f32_e32 v0, v9, v11
	v_fma_f32 v1, -v9, v2, v1
	ds_write_b64 v7, v[0:1]
	v_fma_f32 v0, v8, 0.5, -v12
	v_fma_f32 v1, v11, v10, -v3
	v_fma_f32 v0, -v9, v11, v0
	v_fma_f32 v1, -v9, v2, v1
	ds_write_b64 v4, v[0:1] offset:7560
	ds_read_b64 v[0:1], v6
	ds_read_b64 v[2:3], v4 offset:7056
	s_waitcnt lgkmcnt(0)
	v_add_f32_e32 v7, v0, v2
	v_sub_f32_e32 v0, v0, v2
	v_add_f32_e32 v8, v1, v3
	v_sub_f32_e32 v1, v1, v3
	v_mul_f32_e32 v2, 0.5, v0
	;; [unrolled: 22-line block ×3, first 2 shown]
	v_mul_f32_e32 v7, 0.5, v7
	v_mul_f32_e32 v3, 0.5, v1
	s_waitcnt vmcnt(0)
	v_mul_f32_e32 v8, v16, v2
	v_fma_f32 v0, 0.5, v6, v8
	v_fma_f32 v1, v7, v16, v3
	v_fmac_f32_e32 v0, v15, v7
	v_fma_f32 v1, -v15, v2, v1
	ds_write_b64 v5, v[0:1]
	v_fma_f32 v0, v6, 0.5, -v8
	v_fma_f32 v1, v7, v16, -v3
	v_fma_f32 v0, -v15, v7, v0
	v_fma_f32 v1, -v15, v2, v1
	ds_write_b64 v4, v[0:1] offset:6552
	s_waitcnt lgkmcnt(0)
	; wave barrier
	s_waitcnt lgkmcnt(0)
	s_and_saveexec_b64 s[0:1], vcc
	s_cbranch_execz .LBB0_24
; %bb.22:
	v_mov_b32_e32 v49, v51
	ds_read2_b64 v[2:5], v76 offset1:63
	v_mov_b32_e32 v0, s13
	v_add_co_u32_e32 v1, vcc, s12, v52
	v_lshlrev_b64 v[10:11], 3, v[48:49]
	v_addc_co_u32_e32 v0, vcc, v0, v53, vcc
	ds_read2_b64 v[6:9], v76 offset0:126 offset1:189
	v_add_co_u32_e32 v14, vcc, v1, v10
	v_addc_co_u32_e32 v15, vcc, v0, v11, vcc
	s_waitcnt lgkmcnt(1)
	global_store_dwordx2 v[14:15], v[2:3], off
	global_store_dwordx2 v[14:15], v[4:5], off offset:504
	s_waitcnt lgkmcnt(0)
	global_store_dwordx2 v[14:15], v[6:7], off offset:1008
	global_store_dwordx2 v[14:15], v[8:9], off offset:1512
	v_add_u32_e32 v2, 0x400, v76
	ds_read2_b64 v[2:5], v2 offset0:124 offset1:187
	v_add_u32_e32 v6, 0x800, v76
	ds_read2_b64 v[6:9], v6 offset0:122 offset1:185
	;; [unrolled: 2-line block ×3, first 2 shown]
	s_waitcnt lgkmcnt(2)
	global_store_dwordx2 v[14:15], v[2:3], off offset:2016
	global_store_dwordx2 v[14:15], v[4:5], off offset:2520
	s_waitcnt lgkmcnt(1)
	global_store_dwordx2 v[14:15], v[6:7], off offset:3024
	global_store_dwordx2 v[14:15], v[8:9], off offset:3528
	s_waitcnt lgkmcnt(0)
	global_store_dwordx2 v[14:15], v[10:11], off offset:4032
	v_add_u32_e32 v2, 0x1000, v76
	ds_read2_b64 v[2:5], v2 offset0:118 offset1:181
	s_movk_i32 s0, 0x1000
	v_add_co_u32_e32 v16, vcc, s0, v14
	v_addc_co_u32_e32 v17, vcc, 0, v15, vcc
	global_store_dwordx2 v[16:17], v[12:13], off offset:440
	s_waitcnt lgkmcnt(0)
	global_store_dwordx2 v[16:17], v[2:3], off offset:944
	global_store_dwordx2 v[16:17], v[4:5], off offset:1448
	v_add_u32_e32 v2, 0x1400, v76
	ds_read2_b64 v[2:5], v2 offset0:116 offset1:179
	v_add_u32_e32 v6, 0x1800, v76
	ds_read2_b64 v[6:9], v6 offset0:114 offset1:177
	;; [unrolled: 2-line block ×3, first 2 shown]
	s_waitcnt lgkmcnt(2)
	global_store_dwordx2 v[16:17], v[2:3], off offset:1952
	global_store_dwordx2 v[16:17], v[4:5], off offset:2456
	s_waitcnt lgkmcnt(1)
	global_store_dwordx2 v[16:17], v[6:7], off offset:2960
	global_store_dwordx2 v[16:17], v[8:9], off offset:3464
	s_waitcnt lgkmcnt(0)
	global_store_dwordx2 v[16:17], v[10:11], off offset:3968
	v_add_u32_e32 v2, 0x2000, v76
	ds_read2_b64 v[2:5], v2 offset0:110 offset1:173
	s_movk_i32 s0, 0x2000
	v_add_u32_e32 v6, 0x2400, v76
	v_add_co_u32_e32 v14, vcc, s0, v14
	ds_read2_b64 v[6:9], v6 offset0:108 offset1:171
	v_addc_co_u32_e32 v15, vcc, 0, v15, vcc
	v_add_u32_e32 v10, 0x2800, v76
	global_store_dwordx2 v[14:15], v[12:13], off offset:376
	ds_read2_b64 v[10:13], v10 offset0:106 offset1:169
	v_cmp_eq_u32_e32 vcc, 62, v48
	s_waitcnt lgkmcnt(2)
	global_store_dwordx2 v[14:15], v[2:3], off offset:880
	global_store_dwordx2 v[14:15], v[4:5], off offset:1384
	s_waitcnt lgkmcnt(1)
	global_store_dwordx2 v[14:15], v[6:7], off offset:1888
	global_store_dwordx2 v[14:15], v[8:9], off offset:2392
	;; [unrolled: 3-line block ×3, first 2 shown]
	s_and_b64 exec, exec, vcc
	s_cbranch_execz .LBB0_24
; %bb.23:
	v_mov_b32_e32 v2, 0
	ds_read_b64 v[2:3], v2 offset:12096
	v_add_co_u32_e32 v4, vcc, 0x2000, v1
	v_addc_co_u32_e32 v5, vcc, 0, v0, vcc
	s_waitcnt lgkmcnt(0)
	global_store_dwordx2 v[4:5], v[2:3], off offset:3904
.LBB0_24:
	s_endpgm
	.section	.rodata,"a",@progbits
	.p2align	6, 0x0
	.amdhsa_kernel fft_rtc_back_len1512_factors_2_2_2_3_3_3_7_wgs_63_tpt_63_halfLds_sp_ip_CI_unitstride_sbrr_R2C_dirReg
		.amdhsa_group_segment_fixed_size 0
		.amdhsa_private_segment_fixed_size 0
		.amdhsa_kernarg_size 88
		.amdhsa_user_sgpr_count 6
		.amdhsa_user_sgpr_private_segment_buffer 1
		.amdhsa_user_sgpr_dispatch_ptr 0
		.amdhsa_user_sgpr_queue_ptr 0
		.amdhsa_user_sgpr_kernarg_segment_ptr 1
		.amdhsa_user_sgpr_dispatch_id 0
		.amdhsa_user_sgpr_flat_scratch_init 0
		.amdhsa_user_sgpr_private_segment_size 0
		.amdhsa_uses_dynamic_stack 0
		.amdhsa_system_sgpr_private_segment_wavefront_offset 0
		.amdhsa_system_sgpr_workgroup_id_x 1
		.amdhsa_system_sgpr_workgroup_id_y 0
		.amdhsa_system_sgpr_workgroup_id_z 0
		.amdhsa_system_sgpr_workgroup_info 0
		.amdhsa_system_vgpr_workitem_id 0
		.amdhsa_next_free_vgpr 117
		.amdhsa_next_free_sgpr 22
		.amdhsa_reserve_vcc 1
		.amdhsa_reserve_flat_scratch 0
		.amdhsa_float_round_mode_32 0
		.amdhsa_float_round_mode_16_64 0
		.amdhsa_float_denorm_mode_32 3
		.amdhsa_float_denorm_mode_16_64 3
		.amdhsa_dx10_clamp 1
		.amdhsa_ieee_mode 1
		.amdhsa_fp16_overflow 0
		.amdhsa_exception_fp_ieee_invalid_op 0
		.amdhsa_exception_fp_denorm_src 0
		.amdhsa_exception_fp_ieee_div_zero 0
		.amdhsa_exception_fp_ieee_overflow 0
		.amdhsa_exception_fp_ieee_underflow 0
		.amdhsa_exception_fp_ieee_inexact 0
		.amdhsa_exception_int_div_zero 0
	.end_amdhsa_kernel
	.text
.Lfunc_end0:
	.size	fft_rtc_back_len1512_factors_2_2_2_3_3_3_7_wgs_63_tpt_63_halfLds_sp_ip_CI_unitstride_sbrr_R2C_dirReg, .Lfunc_end0-fft_rtc_back_len1512_factors_2_2_2_3_3_3_7_wgs_63_tpt_63_halfLds_sp_ip_CI_unitstride_sbrr_R2C_dirReg
                                        ; -- End function
	.section	.AMDGPU.csdata,"",@progbits
; Kernel info:
; codeLenInByte = 15972
; NumSgprs: 26
; NumVgprs: 117
; ScratchSize: 0
; MemoryBound: 0
; FloatMode: 240
; IeeeMode: 1
; LDSByteSize: 0 bytes/workgroup (compile time only)
; SGPRBlocks: 3
; VGPRBlocks: 29
; NumSGPRsForWavesPerEU: 26
; NumVGPRsForWavesPerEU: 117
; Occupancy: 2
; WaveLimiterHint : 1
; COMPUTE_PGM_RSRC2:SCRATCH_EN: 0
; COMPUTE_PGM_RSRC2:USER_SGPR: 6
; COMPUTE_PGM_RSRC2:TRAP_HANDLER: 0
; COMPUTE_PGM_RSRC2:TGID_X_EN: 1
; COMPUTE_PGM_RSRC2:TGID_Y_EN: 0
; COMPUTE_PGM_RSRC2:TGID_Z_EN: 0
; COMPUTE_PGM_RSRC2:TIDIG_COMP_CNT: 0
	.type	__hip_cuid_fdd8e1bc02b5a167,@object ; @__hip_cuid_fdd8e1bc02b5a167
	.section	.bss,"aw",@nobits
	.globl	__hip_cuid_fdd8e1bc02b5a167
__hip_cuid_fdd8e1bc02b5a167:
	.byte	0                               ; 0x0
	.size	__hip_cuid_fdd8e1bc02b5a167, 1

	.ident	"AMD clang version 19.0.0git (https://github.com/RadeonOpenCompute/llvm-project roc-6.4.0 25133 c7fe45cf4b819c5991fe208aaa96edf142730f1d)"
	.section	".note.GNU-stack","",@progbits
	.addrsig
	.addrsig_sym __hip_cuid_fdd8e1bc02b5a167
	.amdgpu_metadata
---
amdhsa.kernels:
  - .args:
      - .actual_access:  read_only
        .address_space:  global
        .offset:         0
        .size:           8
        .value_kind:     global_buffer
      - .offset:         8
        .size:           8
        .value_kind:     by_value
      - .actual_access:  read_only
        .address_space:  global
        .offset:         16
        .size:           8
        .value_kind:     global_buffer
      - .actual_access:  read_only
        .address_space:  global
        .offset:         24
        .size:           8
        .value_kind:     global_buffer
      - .offset:         32
        .size:           8
        .value_kind:     by_value
      - .actual_access:  read_only
        .address_space:  global
        .offset:         40
        .size:           8
        .value_kind:     global_buffer
      - .actual_access:  read_only
        .address_space:  global
        .offset:         48
        .size:           8
        .value_kind:     global_buffer
      - .offset:         56
        .size:           4
        .value_kind:     by_value
      - .actual_access:  read_only
        .address_space:  global
        .offset:         64
        .size:           8
        .value_kind:     global_buffer
      - .actual_access:  read_only
        .address_space:  global
        .offset:         72
        .size:           8
        .value_kind:     global_buffer
      - .address_space:  global
        .offset:         80
        .size:           8
        .value_kind:     global_buffer
    .group_segment_fixed_size: 0
    .kernarg_segment_align: 8
    .kernarg_segment_size: 88
    .language:       OpenCL C
    .language_version:
      - 2
      - 0
    .max_flat_workgroup_size: 63
    .name:           fft_rtc_back_len1512_factors_2_2_2_3_3_3_7_wgs_63_tpt_63_halfLds_sp_ip_CI_unitstride_sbrr_R2C_dirReg
    .private_segment_fixed_size: 0
    .sgpr_count:     26
    .sgpr_spill_count: 0
    .symbol:         fft_rtc_back_len1512_factors_2_2_2_3_3_3_7_wgs_63_tpt_63_halfLds_sp_ip_CI_unitstride_sbrr_R2C_dirReg.kd
    .uniform_work_group_size: 1
    .uses_dynamic_stack: false
    .vgpr_count:     117
    .vgpr_spill_count: 0
    .wavefront_size: 64
amdhsa.target:   amdgcn-amd-amdhsa--gfx906
amdhsa.version:
  - 1
  - 2
...

	.end_amdgpu_metadata
